;; amdgpu-corpus repo=ROCm/rocFFT kind=compiled arch=gfx1030 opt=O3
	.text
	.amdgcn_target "amdgcn-amd-amdhsa--gfx1030"
	.amdhsa_code_object_version 6
	.protected	bluestein_single_back_len663_dim1_half_op_CI_CI ; -- Begin function bluestein_single_back_len663_dim1_half_op_CI_CI
	.globl	bluestein_single_back_len663_dim1_half_op_CI_CI
	.p2align	8
	.type	bluestein_single_back_len663_dim1_half_op_CI_CI,@function
bluestein_single_back_len663_dim1_half_op_CI_CI: ; @bluestein_single_back_len663_dim1_half_op_CI_CI
; %bb.0:
	s_load_dwordx4 s[0:3], s[4:5], 0x28
	v_mul_u32_u24_e32 v1, 0x506, v0
	v_mov_b32_e32 v13, 0
	v_lshrrev_b32_e32 v1, 16, v1
	v_add_nc_u32_e32 v12, s6, v1
	s_waitcnt lgkmcnt(0)
	v_cmp_gt_u64_e32 vcc_lo, s[0:1], v[12:13]
	s_and_saveexec_b32 s0, vcc_lo
	s_cbranch_execz .LBB0_23
; %bb.1:
	s_clause 0x1
	s_load_dwordx2 s[8:9], s[4:5], 0x0
	s_load_dwordx2 s[10:11], s[4:5], 0x38
	v_mul_lo_u16 v1, v1, 51
	v_sub_nc_u16 v0, v0, v1
	v_and_b32_e32 v40, 0xffff, v0
	v_cmp_gt_u16_e32 vcc_lo, 39, v0
	v_lshlrev_b32_e32 v39, 2, v40
	s_and_saveexec_b32 s1, vcc_lo
	s_cbranch_execz .LBB0_3
; %bb.2:
	s_load_dwordx2 s[6:7], s[4:5], 0x18
	v_add_nc_u32_e32 v42, 0x400, v39
	s_waitcnt lgkmcnt(0)
	s_load_dwordx4 s[12:15], s[6:7], 0x0
	s_waitcnt lgkmcnt(0)
	v_mad_u64_u32 v[0:1], null, s14, v12, 0
	v_mad_u64_u32 v[2:3], null, s12, v40, 0
	s_mul_i32 s6, s13, 0x9c
	s_mul_hi_u32 s7, s12, 0x9c
	v_mad_u64_u32 v[4:5], null, s15, v12, v[1:2]
	v_mad_u64_u32 v[5:6], null, s13, v40, v[3:4]
	v_mov_b32_e32 v1, v4
	global_load_dword v6, v39, s[8:9]
	v_lshlrev_b64 v[0:1], 2, v[0:1]
	v_mov_b32_e32 v3, v5
	v_add_co_u32 v0, s0, s2, v0
	v_lshlrev_b64 v[2:3], 2, v[2:3]
	v_add_co_ci_u32_e64 v1, s0, s3, v1, s0
	s_mul_i32 s2, s12, 0x9c
	s_add_i32 s3, s7, s6
	v_add_co_u32 v0, s0, v0, v2
	v_add_co_ci_u32_e64 v1, s0, v1, v3, s0
	v_add_co_u32 v2, s0, v0, s2
	v_add_co_ci_u32_e64 v3, s0, s3, v1, s0
	s_clause 0x1
	global_load_dword v7, v[0:1], off
	global_load_dword v8, v[2:3], off
	v_add_co_u32 v4, s0, v2, s2
	v_add_co_ci_u32_e64 v5, s0, s3, v3, s0
	v_add_co_u32 v0, s0, v4, s2
	v_add_co_ci_u32_e64 v1, s0, s3, v5, s0
	v_add_co_u32 v9, s0, s8, v39
	s_clause 0x1
	global_load_dword v11, v39, s[8:9] offset:156
	global_load_dword v13, v39, s[8:9] offset:312
	s_clause 0x1
	global_load_dword v14, v[4:5], off
	global_load_dword v15, v[0:1], off
	v_add_co_ci_u32_e64 v10, null, s9, 0, s0
	v_add_co_u32 v0, s0, v0, s2
	v_add_co_ci_u32_e64 v1, s0, s3, v1, s0
	s_clause 0x4
	global_load_dword v16, v39, s[8:9] offset:468
	global_load_dword v17, v39, s[8:9] offset:624
	;; [unrolled: 1-line block ×5, first 2 shown]
	v_add_co_u32 v2, s0, v0, s2
	v_add_co_ci_u32_e64 v3, s0, s3, v1, s0
	global_load_dword v21, v[0:1], off
	v_add_co_u32 v0, s0, v2, s2
	v_add_co_ci_u32_e64 v1, s0, s3, v3, s0
	global_load_dword v22, v[2:3], off
	;; [unrolled: 3-line block ×5, first 2 shown]
	v_add_co_u32 v0, s0, v2, s2
	v_add_co_ci_u32_e64 v1, s0, s3, v3, s0
	s_clause 0x5
	global_load_dword v26, v39, s[8:9] offset:1248
	global_load_dword v27, v39, s[8:9] offset:1404
	;; [unrolled: 1-line block ×6, first 2 shown]
	global_load_dword v32, v[2:3], off
	global_load_dword v33, v[0:1], off
	v_add_co_u32 v0, s0, v0, s2
	v_add_co_ci_u32_e64 v1, s0, s3, v1, s0
	v_add_co_u32 v2, s0, 0x800, v9
	v_add_co_ci_u32_e64 v3, s0, 0, v10, s0
	;; [unrolled: 2-line block ×3, first 2 shown]
	global_load_dword v9, v[0:1], off
	v_add_co_u32 v0, s0, v4, s2
	v_add_co_ci_u32_e64 v1, s0, s3, v5, s0
	global_load_dword v10, v[4:5], off
	v_add_co_u32 v4, s0, v0, s2
	v_add_co_ci_u32_e64 v5, s0, s3, v1, s0
	global_load_dword v34, v[0:1], off
	v_add_co_u32 v0, s0, v4, s2
	v_add_co_ci_u32_e64 v1, s0, s3, v5, s0
	global_load_dword v35, v[4:5], off
	v_add_co_u32 v4, s0, v0, s2
	v_add_co_ci_u32_e64 v5, s0, s3, v1, s0
	global_load_dword v36, v[2:3], off offset:136
	global_load_dword v0, v[0:1], off
	global_load_dword v1, v[4:5], off
	s_clause 0x1
	global_load_dword v4, v[2:3], off offset:292
	global_load_dword v2, v[2:3], off offset:448
	v_add_nc_u32_e32 v5, 0x200, v39
	s_waitcnt vmcnt(32)
	v_lshrrev_b32_e32 v3, 16, v7
	v_mul_f16_sdwa v37, v6, v7 dst_sel:DWORD dst_unused:UNUSED_PAD src0_sel:WORD_1 src1_sel:DWORD
	s_waitcnt vmcnt(31)
	v_lshrrev_b32_e32 v41, 16, v8
	v_mul_f16_sdwa v38, v6, v3 dst_sel:DWORD dst_unused:UNUSED_PAD src0_sel:WORD_1 src1_sel:DWORD
	v_fma_f16 v3, v6, v3, -v37
	s_waitcnt vmcnt(30)
	v_mul_f16_sdwa v43, v11, v8 dst_sel:DWORD dst_unused:UNUSED_PAD src0_sel:WORD_1 src1_sel:DWORD
	v_fmac_f16_e32 v38, v6, v7
	v_mul_f16_sdwa v6, v11, v41 dst_sel:DWORD dst_unused:UNUSED_PAD src0_sel:WORD_1 src1_sel:DWORD
	s_waitcnt vmcnt(28)
	v_lshrrev_b32_e32 v7, 16, v14
	v_fma_f16 v37, v11, v41, -v43
	v_mul_f16_sdwa v41, v13, v14 dst_sel:DWORD dst_unused:UNUSED_PAD src0_sel:WORD_1 src1_sel:DWORD
	v_fmac_f16_e32 v6, v11, v8
	v_mul_f16_sdwa v8, v13, v7 dst_sel:DWORD dst_unused:UNUSED_PAD src0_sel:WORD_1 src1_sel:DWORD
	s_waitcnt vmcnt(27)
	v_lshrrev_b32_e32 v11, 16, v15
	v_pack_b32_f16 v3, v38, v3
	s_waitcnt vmcnt(26)
	v_mul_f16_sdwa v38, v16, v15 dst_sel:DWORD dst_unused:UNUSED_PAD src0_sel:WORD_1 src1_sel:DWORD
	v_fma_f16 v7, v13, v7, -v41
	v_pack_b32_f16 v6, v6, v37
	v_fmac_f16_e32 v8, v13, v14
	v_mul_f16_sdwa v13, v16, v11 dst_sel:DWORD dst_unused:UNUSED_PAD src0_sel:WORD_1 src1_sel:DWORD
	s_waitcnt vmcnt(21)
	v_lshrrev_b32_e32 v14, 16, v21
	v_fma_f16 v11, v16, v11, -v38
	v_mul_f16_sdwa v37, v17, v21 dst_sel:DWORD dst_unused:UNUSED_PAD src0_sel:WORD_1 src1_sel:DWORD
	ds_write2_b32 v39, v3, v6 offset1:39
	v_pack_b32_f16 v3, v8, v7
	v_fmac_f16_e32 v13, v16, v15
	v_mul_f16_sdwa v6, v17, v14 dst_sel:DWORD dst_unused:UNUSED_PAD src0_sel:WORD_1 src1_sel:DWORD
	s_waitcnt vmcnt(20)
	v_lshrrev_b32_e32 v7, 16, v22
	v_mul_f16_sdwa v8, v18, v22 dst_sel:DWORD dst_unused:UNUSED_PAD src0_sel:WORD_1 src1_sel:DWORD
	v_fma_f16 v14, v17, v14, -v37
	v_pack_b32_f16 v11, v13, v11
	v_fmac_f16_e32 v6, v17, v21
	v_mul_f16_sdwa v13, v18, v7 dst_sel:DWORD dst_unused:UNUSED_PAD src0_sel:WORD_1 src1_sel:DWORD
	v_fma_f16 v7, v18, v7, -v8
	s_waitcnt vmcnt(19)
	v_lshrrev_b32_e32 v8, 16, v23
	v_mul_f16_sdwa v15, v19, v23 dst_sel:DWORD dst_unused:UNUSED_PAD src0_sel:WORD_1 src1_sel:DWORD
	ds_write2_b32 v39, v3, v11 offset0:78 offset1:117
	v_pack_b32_f16 v3, v6, v14
	v_fmac_f16_e32 v13, v18, v22
	v_mul_f16_sdwa v6, v19, v8 dst_sel:DWORD dst_unused:UNUSED_PAD src0_sel:WORD_1 src1_sel:DWORD
	s_waitcnt vmcnt(18)
	v_lshrrev_b32_e32 v11, 16, v24
	v_mul_f16_sdwa v14, v20, v24 dst_sel:DWORD dst_unused:UNUSED_PAD src0_sel:WORD_1 src1_sel:DWORD
	v_fma_f16 v8, v19, v8, -v15
	v_pack_b32_f16 v7, v13, v7
	v_fmac_f16_e32 v6, v19, v23
	v_mul_f16_sdwa v13, v20, v11 dst_sel:DWORD dst_unused:UNUSED_PAD src0_sel:WORD_1 src1_sel:DWORD
	v_fma_f16 v11, v20, v11, -v14
	s_waitcnt vmcnt(17)
	v_lshrrev_b32_e32 v14, 16, v25
	ds_write2_b32 v39, v3, v7 offset0:156 offset1:195
	v_pack_b32_f16 v3, v6, v8
	v_fmac_f16_e32 v13, v20, v24
	s_waitcnt vmcnt(10)
	v_lshrrev_b32_e32 v7, 16, v32
	v_mul_f16_sdwa v8, v27, v32 dst_sel:DWORD dst_unused:UNUSED_PAD src0_sel:WORD_1 src1_sel:DWORD
	v_mul_f16_sdwa v15, v26, v25 dst_sel:DWORD dst_unused:UNUSED_PAD src0_sel:WORD_1 src1_sel:DWORD
	;; [unrolled: 1-line block ×3, first 2 shown]
	v_pack_b32_f16 v11, v13, v11
	v_mul_f16_sdwa v13, v27, v7 dst_sel:DWORD dst_unused:UNUSED_PAD src0_sel:WORD_1 src1_sel:DWORD
	v_fma_f16 v7, v27, v7, -v8
	s_waitcnt vmcnt(9)
	v_lshrrev_b32_e32 v8, 16, v33
	v_fma_f16 v14, v26, v14, -v15
	v_fmac_f16_e32 v6, v26, v25
	v_mul_f16_sdwa v15, v28, v33 dst_sel:DWORD dst_unused:UNUSED_PAD src0_sel:WORD_1 src1_sel:DWORD
	ds_write2_b32 v5, v3, v11 offset0:106 offset1:145
	v_mul_f16_sdwa v5, v28, v8 dst_sel:DWORD dst_unused:UNUSED_PAD src0_sel:WORD_1 src1_sel:DWORD
	v_fmac_f16_e32 v13, v27, v32
	v_pack_b32_f16 v3, v6, v14
	s_waitcnt vmcnt(8)
	v_lshrrev_b32_e32 v6, 16, v9
	v_fma_f16 v8, v28, v8, -v15
	v_mul_f16_sdwa v11, v29, v9 dst_sel:DWORD dst_unused:UNUSED_PAD src0_sel:WORD_1 src1_sel:DWORD
	v_fmac_f16_e32 v5, v28, v33
	s_waitcnt vmcnt(7)
	v_lshrrev_b32_e32 v14, 16, v10
	v_pack_b32_f16 v7, v13, v7
	v_mul_f16_sdwa v13, v29, v6 dst_sel:DWORD dst_unused:UNUSED_PAD src0_sel:WORD_1 src1_sel:DWORD
	v_fma_f16 v6, v29, v6, -v11
	v_mul_f16_sdwa v11, v30, v10 dst_sel:DWORD dst_unused:UNUSED_PAD src0_sel:WORD_1 src1_sel:DWORD
	v_pack_b32_f16 v5, v5, v8
	v_mul_f16_sdwa v8, v30, v14 dst_sel:DWORD dst_unused:UNUSED_PAD src0_sel:WORD_1 src1_sel:DWORD
	v_fmac_f16_e32 v13, v29, v9
	s_waitcnt vmcnt(6)
	v_lshrrev_b32_e32 v9, 16, v34
	v_fma_f16 v11, v30, v14, -v11
	v_mul_f16_sdwa v15, v31, v34 dst_sel:DWORD dst_unused:UNUSED_PAD src0_sel:WORD_1 src1_sel:DWORD
	v_fmac_f16_e32 v8, v30, v10
	v_pack_b32_f16 v6, v13, v6
	s_waitcnt vmcnt(5)
	v_lshrrev_b32_e32 v13, 16, v35
	s_waitcnt vmcnt(4)
	v_mul_f16_sdwa v14, v36, v35 dst_sel:DWORD dst_unused:UNUSED_PAD src0_sel:WORD_1 src1_sel:DWORD
	v_mul_f16_sdwa v10, v31, v9 dst_sel:DWORD dst_unused:UNUSED_PAD src0_sel:WORD_1 src1_sel:DWORD
	v_pack_b32_f16 v8, v8, v11
	s_waitcnt vmcnt(3)
	v_lshrrev_b32_e32 v11, 16, v0
	v_fma_f16 v9, v31, v9, -v15
	s_waitcnt vmcnt(2)
	v_lshrrev_b32_e32 v15, 16, v1
	v_mul_f16_sdwa v16, v36, v13 dst_sel:DWORD dst_unused:UNUSED_PAD src0_sel:WORD_1 src1_sel:DWORD
	v_fma_f16 v13, v36, v13, -v14
	s_waitcnt vmcnt(1)
	v_mul_f16_sdwa v14, v4, v0 dst_sel:DWORD dst_unused:UNUSED_PAD src0_sel:WORD_1 src1_sel:DWORD
	v_mul_f16_sdwa v17, v4, v11 dst_sel:DWORD dst_unused:UNUSED_PAD src0_sel:WORD_1 src1_sel:DWORD
	s_waitcnt vmcnt(0)
	v_mul_f16_sdwa v18, v2, v15 dst_sel:DWORD dst_unused:UNUSED_PAD src0_sel:WORD_1 src1_sel:DWORD
	v_mul_f16_sdwa v19, v2, v1 dst_sel:DWORD dst_unused:UNUSED_PAD src0_sel:WORD_1 src1_sel:DWORD
	v_fmac_f16_e32 v10, v31, v34
	v_fmac_f16_e32 v16, v36, v35
	v_fma_f16 v11, v4, v11, -v14
	v_fmac_f16_e32 v17, v4, v0
	v_fmac_f16_e32 v18, v2, v1
	v_fma_f16 v0, v2, v15, -v19
	v_pack_b32_f16 v1, v10, v9
	v_pack_b32_f16 v2, v16, v13
	;; [unrolled: 1-line block ×3, first 2 shown]
	v_add_nc_u32_e32 v9, 0x800, v39
	v_pack_b32_f16 v0, v18, v0
	ds_write2_b32 v42, v3, v7 offset0:56 offset1:95
	ds_write2_b32 v42, v5, v6 offset0:134 offset1:173
	;; [unrolled: 1-line block ×4, first 2 shown]
	ds_write_b32 v39, v0 offset:2496
.LBB0_3:
	s_or_b32 exec_lo, exec_lo, s1
	s_clause 0x1
	s_load_dwordx2 s[0:1], s[4:5], 0x20
	s_load_dwordx2 s[2:3], s[4:5], 0x8
	v_mov_b32_e32 v8, 0
	s_waitcnt lgkmcnt(0)
	s_barrier
	buffer_gl0_inv
                                        ; implicit-def: $vgpr13
                                        ; implicit-def: $vgpr1
                                        ; implicit-def: $vgpr3
                                        ; implicit-def: $vgpr5
                                        ; implicit-def: $vgpr7
                                        ; implicit-def: $vgpr11
                                        ; implicit-def: $vgpr16
                                        ; implicit-def: $vgpr18
                                        ; implicit-def: $vgpr46
	s_and_saveexec_b32 s4, vcc_lo
	s_cbranch_execz .LBB0_5
; %bb.4:
	v_add_nc_u32_e32 v0, 0x200, v39
	v_add_nc_u32_e32 v1, 0x400, v39
	;; [unrolled: 1-line block ×3, first 2 shown]
	ds_read2_b32 v[8:9], v39 offset1:39
	ds_read2_b32 v[17:18], v39 offset0:78 offset1:117
	ds_read2_b32 v[15:16], v39 offset0:156 offset1:195
	;; [unrolled: 1-line block ×7, first 2 shown]
	ds_read_b32 v13, v39 offset:2496
	s_waitcnt lgkmcnt(7)
	v_alignbit_b32 v46, v17, v17, 16
.LBB0_5:
	s_or_b32 exec_lo, exec_lo, s4
	s_waitcnt lgkmcnt(0)
	v_pk_add_f16 v17, v9, v13 neg_lo:[0,1] neg_hi:[0,1]
	v_pk_add_f16 v20, v13, v9
	v_mov_b32_e32 v80, 0xbb29
	v_mov_b32_e32 v66, 0xb5c8
	;; [unrolled: 1-line block ×3, first 2 shown]
	v_mul_f16_e32 v56, 0xb964, v17
	v_lshrrev_b32_e32 v29, 16, v20
	v_mul_f16_sdwa v59, v17, v80 dst_sel:DWORD dst_unused:UNUSED_PAD src0_sel:WORD_1 src1_sel:DWORD
	v_mul_f16_e32 v65, 0xbb29, v17
	v_mul_f16_sdwa v51, v17, v66 dst_sel:DWORD dst_unused:UNUSED_PAD src0_sel:WORD_1 src1_sel:DWORD
	v_mul_f16_sdwa v74, v17, v76 dst_sel:DWORD dst_unused:UNUSED_PAD src0_sel:WORD_1 src1_sel:DWORD
	v_fma_f16 v19, v29, 0x39e9, -v56
	v_fmamk_f16 v21, v20, 0x3722, v59
	v_fma_f16 v22, v29, 0x3722, -v65
	v_mov_b32_e32 v110, 0xb964
	v_mov_b32_e32 v67, 0xba62
	v_add_f16_sdwa v23, v19, v8 dst_sel:DWORD dst_unused:UNUSED_PAD src0_sel:DWORD src1_sel:WORD_1
	v_add_f16_e32 v24, v21, v8
	v_pk_add_f16 v19, v1, v46 op_sel:[1,0] op_sel_hi:[0,1]
	v_pk_add_f16 v21, v46, v1 op_sel:[1,0] op_sel_hi:[0,1] neg_lo:[0,1] neg_hi:[0,1]
	v_fmamk_f16 v14, v20, 0x3b76, v51
	v_add_f16_sdwa v25, v22, v8 dst_sel:DWORD dst_unused:UNUSED_PAD src0_sel:DWORD src1_sel:WORD_1
	v_fmamk_f16 v22, v20, 0x2de8, v74
	v_lshrrev_b32_e32 v27, 16, v19
	v_mul_f16_sdwa v53, v21, v110 dst_sel:DWORD dst_unused:UNUSED_PAD src0_sel:WORD_1 src1_sel:DWORD
	v_mul_f16_e32 v57, 0xbbf7, v21
	v_mul_f16_sdwa v62, v21, v67 dst_sel:DWORD dst_unused:UNUSED_PAD src0_sel:WORD_1 src1_sel:DWORD
	v_add_f16_e32 v14, v14, v8
	v_mul_f16_e32 v85, 0xbbf7, v17
	v_add_f16_e32 v28, v22, v8
	v_fmamk_f16 v22, v27, 0x39e9, v53
	v_fma_f16 v30, v19, 0x2de8, -v57
	v_fmamk_f16 v31, v27, 0xb8d2, v62
	v_mul_f16_e32 v71, 0xba62, v21
	v_mov_b32_e32 v87, 0xb1e1
	v_fma_f16 v26, v29, 0x2de8, -v85
	v_add_f16_e32 v14, v22, v14
	v_add_f16_e32 v30, v30, v23
	;; [unrolled: 1-line block ×3, first 2 shown]
	v_fma_f16 v31, v19, 0xb8d2, -v71
	v_mul_f16_sdwa v82, v21, v87 dst_sel:DWORD dst_unused:UNUSED_PAD src0_sel:WORD_1 src1_sel:DWORD
	v_mul_f16_e32 v93, 0xb1e1, v21
	v_pk_add_f16 v22, v18, v0 neg_lo:[0,1] neg_hi:[0,1]
	v_pk_add_f16 v23, v0, v18
	v_mov_b32_e32 v34, 0x31e1
	v_add_f16_sdwa v26, v26, v8 dst_sel:DWORD dst_unused:UNUSED_PAD src0_sel:DWORD src1_sel:WORD_1
	v_add_f16_e32 v31, v31, v25
	v_fmamk_f16 v25, v27, 0xbbdd, v82
	v_fma_f16 v33, v19, 0xbbdd, -v93
	v_mul_f16_sdwa v55, v22, v80 dst_sel:DWORD dst_unused:UNUSED_PAD src0_sel:WORD_1 src1_sel:DWORD
	v_lshrrev_b32_e32 v32, 16, v23
	v_mul_f16_e32 v60, 0xba62, v22
	v_mul_f16_sdwa v68, v22, v34 dst_sel:DWORD dst_unused:UNUSED_PAD src0_sel:WORD_1 src1_sel:DWORD
	v_mov_b32_e32 v81, 0x3bb2
	v_add_f16_e32 v28, v25, v28
	v_add_f16_e32 v26, v33, v26
	v_fmamk_f16 v25, v23, 0x3722, v55
	v_fma_f16 v33, v32, 0xb8d2, -v60
	v_mul_f16_e32 v77, 0x31e1, v22
	v_fmamk_f16 v34, v23, 0xbbdd, v68
	v_mul_f16_sdwa v88, v22, v81 dst_sel:DWORD dst_unused:UNUSED_PAD src0_sel:WORD_1 src1_sel:DWORD
	v_add_f16_e32 v14, v25, v14
	v_add_f16_e32 v30, v33, v30
	v_fma_f16 v33, v32, 0xbbdd, -v77
	v_add_f16_e32 v34, v34, v24
	v_fmamk_f16 v35, v23, 0xb461, v88
	v_mul_f16_e32 v115, 0x3bb2, v22
	v_pk_add_f16 v24, v15, v3 neg_lo:[0,1] neg_hi:[0,1]
	v_pk_add_f16 v25, v3, v15
	v_add_f16_e32 v31, v33, v31
	v_add_f16_e32 v33, v35, v28
	v_fma_f16 v28, v32, 0xb461, -v115
	v_mul_f16_sdwa v58, v24, v76 dst_sel:DWORD dst_unused:UNUSED_PAD src0_sel:WORD_1 src1_sel:DWORD
	v_lshrrev_b32_e32 v35, 16, v25
	v_mul_f16_e32 v64, 0xb1e1, v24
	v_mul_f16_sdwa v72, v24, v81 dst_sel:DWORD dst_unused:UNUSED_PAD src0_sel:WORD_1 src1_sel:DWORD
	v_mul_f16_e32 v84, 0x3bb2, v24
	v_add_f16_e32 v36, v28, v26
	v_fmamk_f16 v26, v25, 0x2de8, v58
	v_fma_f16 v28, v35, 0xbbdd, -v64
	v_mov_b32_e32 v41, 0x35c8
	v_fmamk_f16 v37, v25, 0xb461, v72
	v_fma_f16 v38, v35, 0xb461, -v84
	v_add_f16_e32 v14, v26, v14
	v_add_f16_e32 v30, v28, v30
	v_mul_f16_sdwa v97, v24, v41 dst_sel:DWORD dst_unused:UNUSED_PAD src0_sel:WORD_1 src1_sel:DWORD
	v_mul_f16_e32 v117, 0x35c8, v24
	v_pk_add_f16 v26, v16, v2 neg_lo:[0,1] neg_hi:[0,1]
	v_mov_b32_e32 v113, 0xbbb2
	v_pk_add_f16 v28, v2, v16
	v_mov_b32_e32 v142, 0x3964
	v_add_f16_e32 v34, v37, v34
	v_add_f16_e32 v37, v38, v31
	v_fmamk_f16 v31, v25, 0x3b76, v97
	v_fma_f16 v38, v35, 0x3b76, -v117
	v_mul_f16_sdwa v61, v26, v113 dst_sel:DWORD dst_unused:UNUSED_PAD src0_sel:WORD_1 src1_sel:DWORD
	v_lshrrev_b32_e32 v49, 16, v28
	v_mul_f16_e32 v70, 0x3836, v26
	v_mul_f16_sdwa v78, v26, v142 dst_sel:DWORD dst_unused:UNUSED_PAD src0_sel:WORD_1 src1_sel:DWORD
	v_add_f16_e32 v33, v31, v33
	v_add_f16_e32 v36, v38, v36
	v_fmamk_f16 v31, v28, 0xb461, v61
	v_fma_f16 v38, v49, 0xbacd, -v70
	v_fmamk_f16 v41, v28, 0x39e9, v78
	v_mul_f16_e32 v89, 0x3964, v26
	v_mul_f16_sdwa v112, v26, v80 dst_sel:DWORD dst_unused:UNUSED_PAD src0_sel:WORD_1 src1_sel:DWORD
	v_add_f16_e32 v14, v31, v14
	v_add_f16_e32 v38, v38, v30
	;; [unrolled: 1-line block ×3, first 2 shown]
	v_fma_f16 v41, v49, 0x39e9, -v89
	v_fmamk_f16 v42, v28, 0x3722, v112
	v_mul_f16_e32 v120, 0xbb29, v26
	v_pk_add_f16 v30, v10, v5 neg_lo:[0,1] neg_hi:[0,1]
	v_pk_add_f16 v31, v5, v10
	v_add_f16_e32 v37, v41, v37
	v_add_f16_e32 v41, v42, v33
	v_fma_f16 v33, v49, 0x3722, -v120
	v_mul_f16_sdwa v63, v30, v67 dst_sel:DWORD dst_unused:UNUSED_PAD src0_sel:WORD_1 src1_sel:DWORD
	v_lshrrev_b32_e32 v50, 16, v31
	v_mul_f16_e32 v73, 0x3bb2, v30
	v_mul_f16_sdwa v83, v30, v66 dst_sel:DWORD dst_unused:UNUSED_PAD src0_sel:WORD_1 src1_sel:DWORD
	v_add_f16_e32 v36, v33, v36
	v_mov_b32_e32 v127, 0xb836
	v_fmamk_f16 v33, v31, 0xb8d2, v63
	v_fma_f16 v42, v50, 0xb461, -v73
	v_fmamk_f16 v43, v31, 0x3b76, v83
	v_mul_f16_e32 v101, 0xb5c8, v30
	v_mul_f16_sdwa v116, v30, v127 dst_sel:DWORD dst_unused:UNUSED_PAD src0_sel:WORD_1 src1_sel:DWORD
	v_add_f16_e32 v14, v33, v14
	v_add_f16_e32 v38, v42, v38
	;; [unrolled: 1-line block ×3, first 2 shown]
	v_fma_f16 v43, v50, 0x3b76, -v101
	v_mul_f16_e32 v125, 0xb836, v30
	v_pk_add_f16 v33, v11, v4 neg_lo:[0,1] neg_hi:[0,1]
	v_pk_add_f16 v34, v4, v11
	v_fmamk_f16 v44, v31, 0xbacd, v116
	v_add_f16_e32 v37, v43, v37
	v_fma_f16 v43, v50, 0xbacd, -v125
	v_mul_f16_sdwa v69, v33, v127 dst_sel:DWORD dst_unused:UNUSED_PAD src0_sel:WORD_1 src1_sel:DWORD
	v_lshrrev_b32_e32 v52, 16, v34
	v_mul_f16_e32 v79, 0x3b29, v33
	v_mul_f16_sdwa v90, v33, v76 dst_sel:DWORD dst_unused:UNUSED_PAD src0_sel:WORD_1 src1_sel:DWORD
	v_add_f16_e32 v41, v44, v41
	v_add_f16_e32 v43, v43, v36
	v_fmamk_f16 v36, v34, 0xbacd, v69
	v_mov_b32_e32 v121, 0x3a62
	v_fma_f16 v44, v52, 0x3722, -v79
	v_fmamk_f16 v45, v34, 0x2de8, v90
	v_mul_f16_e32 v114, 0xbbf7, v33
	v_add_f16_e32 v14, v36, v14
	v_mul_f16_sdwa v118, v33, v121 dst_sel:DWORD dst_unused:UNUSED_PAD src0_sel:WORD_1 src1_sel:DWORD
	v_add_f16_e32 v38, v44, v38
	v_add_f16_e32 v44, v45, v42
	v_fma_f16 v42, v52, 0x2de8, -v114
	v_mul_f16_e32 v131, 0x3a62, v33
	v_pk_add_f16 v36, v6, v7 neg_lo:[0,1] neg_hi:[0,1]
	v_fmamk_f16 v45, v34, 0xb8d2, v118
	v_pk_add_f16 v48, v7, v6
	v_add_f16_e32 v47, v42, v37
	v_fma_f16 v37, v52, 0xb8d2, -v131
	v_mul_f16_sdwa v75, v36, v87 dst_sel:DWORD dst_unused:UNUSED_PAD src0_sel:WORD_1 src1_sel:DWORD
	v_add_f16_e32 v41, v45, v41
	v_lshrrev_b32_e32 v54, 16, v48
	v_mul_f16_e32 v86, 0x35c8, v36
	v_add_f16_e32 v45, v37, v43
	v_pk_mul_f16 v94, 0x3b7639e9, v20
	v_fmamk_f16 v37, v48, 0xbbdd, v75
	v_mul_f16_sdwa v105, v36, v127 dst_sel:DWORD dst_unused:UNUSED_PAD src0_sel:WORD_1 src1_sel:DWORD
	v_fma_f16 v43, v54, 0x3b76, -v86
	v_pk_mul_f16 v98, 0xbbf7b964, v21
	v_pk_fma_f16 v91, 0xb964b5c8, v17, v94 op_sel:[0,0,1] op_sel_hi:[1,1,0] neg_lo:[0,1,0] neg_hi:[0,1,0]
	v_add_f16_e32 v42, v37, v14
	v_fmamk_f16 v14, v48, 0xbacd, v105
	v_pk_fma_f16 v96, 0xb964b5c8, v17, v94 op_sel:[0,0,1] op_sel_hi:[1,1,0]
	v_add_f16_e32 v43, v43, v38
	v_pk_fma_f16 v92, 0x2de839e9, v19, v98 neg_lo:[0,0,1] neg_hi:[0,0,1]
	v_add_f16_sdwa v38, v91, v8 dst_sel:DWORD dst_unused:UNUSED_PAD src0_sel:DWORD src1_sel:WORD_1
	v_pk_mul_f16 v99, 0x3722b8d2, v23
	v_add_f16_e32 v37, v14, v44
	v_pk_fma_f16 v100, 0x2de839e9, v19, v98
	v_add_f16_sdwa v44, v96, v8 dst_sel:DWORD dst_unused:UNUSED_PAD src0_sel:WORD_1 src1_sel:DWORD
	v_add_f16_e32 v14, v92, v38
	v_pk_fma_f16 v95, 0xba62bb29, v22, v99 op_sel:[0,0,1] op_sel_hi:[1,1,0] neg_lo:[0,1,0] neg_hi:[0,1,0]
	v_pk_mul_f16 v38, 0x2de8bbdd, v25
	v_pk_fma_f16 v102, 0xba62bb29, v22, v99 op_sel:[0,0,1] op_sel_hi:[1,1,0]
	v_add_f16_sdwa v44, v100, v44 dst_sel:DWORD dst_unused:UNUSED_PAD src0_sel:WORD_1 src1_sel:DWORD
	v_pk_mul_f16 v103, 0xb461bacd, v28
	v_add_f16_e32 v14, v95, v14
	v_pk_fma_f16 v94, 0xb1e1bbf7, v24, v38 op_sel:[0,0,1] op_sel_hi:[1,1,0] neg_lo:[0,1,0] neg_hi:[0,1,0]
	v_pk_fma_f16 v99, 0xb1e1bbf7, v24, v38 op_sel:[0,0,1] op_sel_hi:[1,1,0]
	v_add_f16_sdwa v38, v102, v44 dst_sel:DWORD dst_unused:UNUSED_PAD src0_sel:WORD_1 src1_sel:DWORD
	v_pk_fma_f16 v98, 0x3836bbb2, v26, v103 op_sel:[0,0,1] op_sel_hi:[1,1,0] neg_lo:[0,1,0] neg_hi:[0,1,0]
	v_pk_mul_f16 v44, 0xb8d2b461, v31
	v_add_f16_e32 v14, v94, v14
	v_pk_fma_f16 v103, 0x3836bbb2, v26, v103 op_sel:[0,0,1] op_sel_hi:[1,1,0]
	v_add_f16_sdwa v38, v99, v38 dst_sel:DWORD dst_unused:UNUSED_PAD src0_sel:WORD_1 src1_sel:DWORD
	v_pk_mul_f16 v108, 0xbacd3722, v34
	v_pk_fma_f16 v104, 0x3bb2ba62, v30, v44 op_sel:[0,0,1] op_sel_hi:[1,1,0] neg_lo:[0,1,0] neg_hi:[0,1,0]
	v_add_f16_e32 v14, v98, v14
	v_pk_fma_f16 v107, 0x3bb2ba62, v30, v44 op_sel:[0,0,1] op_sel_hi:[1,1,0]
	v_add_f16_sdwa v38, v103, v38 dst_sel:DWORD dst_unused:UNUSED_PAD src0_sel:WORD_1 src1_sel:DWORD
	v_mul_f16_e32 v119, 0xb836, v36
	v_mul_f16_e32 v157, 0x3964, v36
	v_add_f16_e32 v14, v104, v14
	v_pk_fma_f16 v106, 0x3b29b836, v33, v108 op_sel:[0,0,1] op_sel_hi:[1,1,0] neg_lo:[0,1,0] neg_hi:[0,1,0]
	v_pk_mul_f16 v44, 0xbbdd3b76, v48
	v_pk_fma_f16 v108, 0x3b29b836, v33, v108 op_sel:[0,0,1] op_sel_hi:[1,1,0]
	v_add_f16_sdwa v38, v107, v38 dst_sel:DWORD dst_unused:UNUSED_PAD src0_sel:WORD_1 src1_sel:DWORD
	v_mul_f16_sdwa v150, v36, v142 dst_sel:DWORD dst_unused:UNUSED_PAD src0_sel:WORD_1 src1_sel:DWORD
	v_fma_f16 v122, v54, 0xbacd, -v119
	v_fma_f16 v123, v54, 0x39e9, -v157
	v_add_f16_e32 v14, v106, v14
	v_pk_fma_f16 v109, 0x35c8b1e1, v36, v44 op_sel:[0,0,1] op_sel_hi:[1,1,0] neg_lo:[0,1,0] neg_hi:[0,1,0]
	v_pk_fma_f16 v111, 0x35c8b1e1, v36, v44 op_sel:[0,0,1] op_sel_hi:[1,1,0]
	v_add_f16_sdwa v124, v108, v38 dst_sel:DWORD dst_unused:UNUSED_PAD src0_sel:WORD_1 src1_sel:DWORD
	v_fmamk_f16 v126, v48, 0x39e9, v150
	v_add_f16_e32 v38, v122, v47
	v_add_f16_e32 v47, v123, v45
	;; [unrolled: 1-line block ×3, first 2 shown]
	v_add_f16_sdwa v45, v111, v124 dst_sel:DWORD dst_unused:UNUSED_PAD src0_sel:WORD_1 src1_sel:DWORD
	v_add_f16_e32 v14, v126, v41
	v_mul_lo_u16 v41, v40, 17
	s_barrier
	buffer_gl0_inv
	s_and_saveexec_b32 s4, vcc_lo
	s_cbranch_execz .LBB0_7
; %bb.6:
	v_mul_f16_e32 v134, 0xb836, v17
	v_mul_f16_e32 v132, 0x3b29, v21
	v_mul_f16_sdwa v128, v17, v127 dst_sel:DWORD dst_unused:UNUSED_PAD src0_sel:WORD_1 src1_sel:DWORD
	v_mov_b32_e32 v140, 0x3b29
	v_mul_f16_e32 v144, 0xbbf7, v22
	v_fmamk_f16 v122, v29, 0xbacd, v134
	v_fmamk_f16 v126, v19, 0x3722, v132
	v_mul_f16_e32 v141, 0x3a62, v24
	v_fma_f16 v124, v20, 0xbacd, -v128
	v_mul_f16_sdwa v123, v21, v140 dst_sel:DWORD dst_unused:UNUSED_PAD src0_sel:WORD_1 src1_sel:DWORD
	v_add_f16_sdwa v129, v122, v8 dst_sel:DWORD dst_unused:UNUSED_PAD src0_sel:DWORD src1_sel:WORD_1
	v_fmamk_f16 v133, v32, 0x2de8, v144
	v_mul_f16_sdwa v122, v22, v76 dst_sel:DWORD dst_unused:UNUSED_PAD src0_sel:WORD_1 src1_sel:DWORD
	v_add_f16_e32 v76, v124, v8
	v_fma_f16 v130, v27, 0x3722, -v123
	v_add_f16_e32 v126, v126, v129
	v_fmamk_f16 v129, v35, 0xb8d2, v141
	v_mul_f16_e32 v143, 0xb5c8, v26
	v_mul_f16_sdwa v124, v24, v121 dst_sel:DWORD dst_unused:UNUSED_PAD src0_sel:WORD_1 src1_sel:DWORD
	v_fma_f16 v121, v23, 0x2de8, -v122
	v_add_f16_e32 v126, v133, v126
	v_add_f16_e32 v76, v130, v76
	v_mul_f16_e32 v136, 0xb1e1, v30
	v_mul_f16_e32 v147, 0xba62, v17
	v_fma_f16 v130, v25, 0xb8d2, -v124
	v_add_f16_e32 v126, v129, v126
	v_fmamk_f16 v129, v49, 0x3b76, v143
	v_add_f16_e32 v76, v121, v76
	v_mul_f16_sdwa v121, v26, v66 dst_sel:DWORD dst_unused:UNUSED_PAD src0_sel:WORD_1 src1_sel:DWORD
	v_fmamk_f16 v133, v50, 0xbbdd, v136
	v_fmamk_f16 v135, v29, 0xb8d2, v147
	v_add_f16_e32 v129, v129, v126
	v_mul_f16_e32 v148, 0x3bb2, v21
	v_add_f16_e32 v76, v130, v76
	v_fma_f16 v130, v28, 0x3b76, -v121
	v_mul_f16_sdwa v126, v30, v87 dst_sel:DWORD dst_unused:UNUSED_PAD src0_sel:WORD_1 src1_sel:DWORD
	v_add_f16_e32 v129, v133, v129
	v_add_f16_sdwa v133, v135, v8 dst_sel:DWORD dst_unused:UNUSED_PAD src0_sel:DWORD src1_sel:WORD_1
	v_fmamk_f16 v135, v19, 0xb461, v148
	v_mul_f16_e32 v149, 0xb5c8, v22
	v_add_f16_e32 v76, v130, v76
	v_fma_f16 v130, v31, 0xbbdd, -v126
	v_mul_f16_e32 v156, 0x3964, v33
	v_add_f16_e32 v133, v135, v133
	v_fmamk_f16 v135, v32, 0x3b76, v149
	v_mul_f16_e32 v151, 0xb836, v24
	v_add_f16_e32 v76, v130, v76
	v_mul_f16_sdwa v130, v33, v142 dst_sel:DWORD dst_unused:UNUSED_PAD src0_sel:WORD_1 src1_sel:DWORD
	v_fmamk_f16 v137, v52, 0x39e9, v156
	v_mul_f16_e32 v153, 0xbbb2, v36
	v_add_f16_e32 v133, v135, v133
	v_fmamk_f16 v135, v35, 0xbacd, v151
	v_mul_f16_e32 v145, 0x3bf7, v26
	v_fma_f16 v138, v34, 0x39e9, -v130
	v_add_f16_e32 v129, v137, v129
	v_fmamk_f16 v137, v54, 0xb461, v153
	v_add_f16_e32 v133, v135, v133
	v_fmamk_f16 v139, v49, 0x2de8, v145
	v_mul_f16_e32 v146, 0xb964, v30
	v_mul_f16_sdwa v158, v17, v67 dst_sel:DWORD dst_unused:UNUSED_PAD src0_sel:WORD_1 src1_sel:DWORD
	v_add_f16_e32 v138, v138, v76
	v_add_f16_e32 v76, v137, v129
	;; [unrolled: 1-line block ×3, first 2 shown]
	v_fmamk_f16 v133, v50, 0x39e9, v146
	v_mul_f16_e32 v154, 0xb1e1, v33
	v_fma_f16 v137, v20, 0xb8d2, -v158
	v_mul_f16_sdwa v159, v21, v81 dst_sel:DWORD dst_unused:UNUSED_PAD src0_sel:WORD_1 src1_sel:DWORD
	v_mul_f16_sdwa v160, v22, v66 dst_sel:DWORD dst_unused:UNUSED_PAD src0_sel:WORD_1 src1_sel:DWORD
	v_add_f16_e32 v129, v133, v129
	v_fmamk_f16 v133, v52, 0xbbdd, v154
	v_add_f16_e32 v137, v137, v8
	v_fma_f16 v139, v27, 0xb461, -v159
	v_mul_f16_e32 v162, 0xbbb2, v17
	v_mul_f16_sdwa v135, v36, v113 dst_sel:DWORD dst_unused:UNUSED_PAD src0_sel:WORD_1 src1_sel:DWORD
	v_add_f16_e32 v161, v133, v129
	v_fma_f16 v133, v23, 0x3b76, -v160
	v_add_f16_e32 v129, v139, v137
	v_mul_f16_sdwa v163, v24, v127 dst_sel:DWORD dst_unused:UNUSED_PAD src0_sel:WORD_1 src1_sel:DWORD
	v_mov_b32_e32 v164, 0x3bf7
	v_fmamk_f16 v127, v29, 0xb461, v162
	v_mul_f16_e32 v165, 0x3836, v21
	v_fma_f16 v81, v48, 0xb461, -v135
	v_add_f16_e32 v129, v133, v129
	v_fma_f16 v133, v25, 0xbacd, -v163
	v_mul_f16_sdwa v152, v26, v164 dst_sel:DWORD dst_unused:UNUSED_PAD src0_sel:WORD_1 src1_sel:DWORD
	v_add_f16_sdwa v127, v127, v8 dst_sel:DWORD dst_unused:UNUSED_PAD src0_sel:DWORD src1_sel:WORD_1
	v_fmamk_f16 v137, v19, 0xbacd, v165
	v_mul_f16_e32 v155, 0x3964, v22
	v_add_f16_e32 v81, v81, v138
	v_add_f16_e32 v129, v133, v129
	v_fma_f16 v138, v28, 0x2de8, -v152
	v_mul_f16_sdwa v133, v30, v110 dst_sel:DWORD dst_unused:UNUSED_PAD src0_sel:WORD_1 src1_sel:DWORD
	v_add_f16_e32 v110, v137, v127
	v_fmamk_f16 v127, v32, 0x39e9, v155
	v_mul_f16_e32 v137, 0xbb29, v24
	v_add_f16_e32 v139, v138, v129
	v_fma_f16 v166, v31, 0x39e9, -v133
	v_mul_f16_sdwa v129, v33, v87 dst_sel:DWORD dst_unused:UNUSED_PAD src0_sel:WORD_1 src1_sel:DWORD
	v_add_f16_e32 v110, v127, v110
	v_fmamk_f16 v127, v35, 0x3722, v137
	v_mul_f16_e32 v138, 0xb1e1, v26
	v_add_f16_e32 v166, v166, v139
	v_fma_f16 v168, v34, 0xbbdd, -v129
	v_mul_f16_e32 v139, 0x3bf7, v30
	v_add_f16_e32 v110, v127, v110
	v_fmamk_f16 v169, v49, 0xbbdd, v138
	v_mul_f16_e32 v167, 0x3b29, v36
	v_mul_f16_sdwa v127, v36, v140 dst_sel:DWORD dst_unused:UNUSED_PAD src0_sel:WORD_1 src1_sel:DWORD
	v_add_f16_e32 v166, v168, v166
	v_fmamk_f16 v168, v50, 0x2de8, v139
	v_add_f16_e32 v110, v169, v110
	v_mul_f16_e32 v140, 0xb5c8, v33
	v_fmamk_f16 v170, v54, 0x3722, v167
	v_fma_f16 v169, v48, 0x3722, -v127
	v_mul_f16_sdwa v171, v17, v113 dst_sel:DWORD dst_unused:UNUSED_PAD src0_sel:WORD_1 src1_sel:DWORD
	v_mov_b32_e32 v113, 0x3836
	v_add_f16_e32 v168, v168, v110
	v_fmamk_f16 v172, v52, 0x3b76, v140
	v_add_f16_e32 v110, v170, v161
	v_alignbit_b32 v46, v46, v46, 16
	v_mul_f16_sdwa v170, v21, v113 dst_sel:DWORD dst_unused:UNUSED_PAD src0_sel:WORD_1 src1_sel:DWORD
	v_add_f16_e32 v113, v169, v166
	v_add_f16_e32 v166, v172, v168
	v_mul_f16_e32 v168, 0x2de8, v29
	v_mul_f16_e32 v172, 0xbbdd, v19
	v_fmac_f16_e32 v128, 0xbacd, v20
	v_fmac_f16_e32 v123, 0x3722, v27
	;; [unrolled: 1-line block ×3, first 2 shown]
	v_add_f16_e32 v85, v85, v168
	v_mul_f16_e32 v168, 0xba62, v36
	v_add_f16_e32 v93, v93, v172
	v_mul_f16_sdwa v172, v24, v80 dst_sel:DWORD dst_unused:UNUSED_PAD src0_sel:WORD_1 src1_sel:DWORD
	v_mul_f16_e32 v80, 0xb461, v32
	v_add_f16_sdwa v85, v85, v8 dst_sel:DWORD dst_unused:UNUSED_PAD src0_sel:DWORD src1_sel:WORD_1
	v_fmamk_f16 v173, v54, 0xb8d2, v168
	v_fmac_f16_e32 v158, 0xb8d2, v20
	v_fmac_f16_e32 v124, 0xb8d2, v25
	v_add_f16_e32 v115, v115, v80
	v_add_f16_e32 v85, v93, v85
	;; [unrolled: 1-line block ×3, first 2 shown]
	v_mul_f16_e32 v166, 0x3b76, v35
	v_fmac_f16_e32 v159, 0xb461, v27
	v_fmac_f16_e32 v160, 0x3b76, v23
	v_add_f16_e32 v85, v115, v85
	v_mul_f16_e32 v115, 0x2de8, v20
	v_add_f16_e32 v117, v117, v166
	v_mul_f16_e32 v166, 0xbbdd, v27
	v_fma_f16 v161, v20, 0xb461, -v171
	v_fmac_f16_e32 v171, 0xb461, v20
	v_sub_f16_e32 v74, v115, v74
	v_mul_f16_e32 v115, 0x3722, v49
	v_sub_f16_e32 v82, v166, v82
	v_add_f16_e32 v85, v117, v85
	v_mul_f16_e32 v117, 0xb461, v23
	v_add_f16_e32 v74, v74, v8
	v_add_f16_e32 v115, v120, v115
	;; [unrolled: 1-line block ×3, first 2 shown]
	v_fma_f16 v169, v27, 0xbacd, -v170
	v_sub_f16_e32 v88, v117, v88
	v_add_f16_e32 v74, v82, v74
	v_mul_f16_e32 v82, 0xbacd, v50
	v_add_f16_e32 v85, v115, v85
	v_mul_f16_e32 v115, 0x3b76, v25
	v_mul_f16_sdwa v142, v22, v142 dst_sel:DWORD dst_unused:UNUSED_PAD src0_sel:WORD_1 src1_sel:DWORD
	v_add_f16_e32 v74, v88, v74
	v_add_f16_e32 v82, v125, v82
	v_mul_f16_e32 v88, 0x3722, v29
	v_sub_f16_e32 v97, v115, v97
	v_fmac_f16_e32 v170, 0xbacd, v27
	v_add_f16_e32 v161, v169, v161
	v_add_f16_e32 v82, v82, v85
	v_mul_f16_e32 v85, 0xb8d2, v19
	v_add_f16_e32 v65, v65, v88
	v_mul_f16_e32 v88, 0x3722, v28
	;; [unrolled: 2-line block ×3, first 2 shown]
	v_add_f16_e32 v71, v71, v85
	v_add_f16_sdwa v65, v65, v8 dst_sel:DWORD dst_unused:UNUSED_PAD src0_sel:DWORD src1_sel:WORD_1
	v_sub_f16_e32 v85, v88, v112
	v_mul_f16_e32 v88, 0xbbdd, v32
	v_add_f16_e32 v97, v131, v97
	v_fma_f16 v169, v23, 0x39e9, -v142
	v_add_f16_e32 v65, v71, v65
	v_mul_f16_e32 v71, 0xbacd, v31
	v_add_f16_e32 v77, v77, v88
	v_mul_f16_e32 v88, 0xb461, v35
	;; [unrolled: 2-line block ×3, first 2 shown]
	v_sub_f16_e32 v71, v71, v116
	v_add_f16_e32 v65, v77, v65
	v_add_f16_e32 v77, v84, v88
	v_mul_f16_e32 v88, 0xb8d2, v34
	v_add_f16_e32 v82, v97, v82
	v_add_f16_e32 v71, v71, v74
	v_mul_f16_e32 v74, 0x3722, v20
	v_add_f16_e32 v65, v77, v65
	v_mul_f16_e32 v77, 0xb8d2, v27
	v_fmac_f16_e32 v142, 0x39e9, v23
	v_add_f16_e32 v161, v169, v161
	v_sub_f16_e32 v59, v74, v59
	v_add_f16_e32 v74, v89, v85
	v_sub_f16_e32 v62, v77, v62
	v_mul_f16_e32 v77, 0xbbdd, v23
	v_sub_f16_e32 v85, v88, v118
	v_add_f16_e32 v59, v59, v8
	v_mul_f16_e32 v88, 0x3b76, v50
	v_add_f16_e32 v65, v74, v65
	v_mul_f16_e32 v89, 0x39e9, v54
	v_add_f16_e32 v71, v85, v71
	v_add_f16_e32 v59, v62, v59
	v_sub_f16_e32 v62, v77, v68
	v_mul_f16_e32 v77, 0xb461, v25
	v_add_f16_e32 v74, v101, v88
	v_mul_f16_e32 v85, 0x2de8, v52
	v_add_f16_e32 v68, v157, v89
	v_add_f16_e32 v59, v62, v59
	v_sub_f16_e32 v62, v77, v72
	v_mul_f16_e32 v72, 0x39e9, v28
	v_mul_f16_e32 v77, 0x39e9, v29
	v_add_f16_e32 v65, v74, v65
	v_add_f16_e32 v74, v114, v85
	;; [unrolled: 1-line block ×3, first 2 shown]
	v_sub_f16_e32 v62, v72, v78
	v_mul_f16_e32 v72, 0x2de8, v19
	v_add_f16_e32 v56, v56, v77
	v_mul_f16_e32 v85, 0x39e9, v48
	v_add_f16_e32 v65, v74, v65
	v_add_f16_e32 v59, v62, v59
	;; [unrolled: 1-line block ×3, first 2 shown]
	v_add_f16_sdwa v56, v56, v8 dst_sel:DWORD dst_unused:UNUSED_PAD src0_sel:DWORD src1_sel:WORD_1
	v_mul_f16_e32 v62, 0xb8d2, v32
	v_sub_f16_e32 v77, v85, v150
	v_mul_f16_e32 v74, 0x3b76, v31
	v_fma_f16 v93, v25, 0x3722, -v172
	v_add_f16_e32 v56, v57, v56
	v_add_f16_e32 v60, v60, v62
	v_mul_f16_e32 v62, 0xbbdd, v35
	v_sub_f16_e32 v72, v74, v83
	v_mul_f16_e32 v57, 0x2de8, v34
	v_mul_f16_sdwa v87, v26, v87 dst_sel:DWORD dst_unused:UNUSED_PAD src0_sel:WORD_1 src1_sel:DWORD
	v_add_f16_e32 v56, v60, v56
	v_add_f16_e32 v60, v64, v62
	v_mul_f16_e32 v62, 0xbacd, v49
	v_add_f16_e32 v64, v68, v82
	v_add_f16_e32 v68, v77, v71
	v_mul_f16_e32 v71, 0xb8d2, v31
	;; [unrolled: 3-line block ×3, first 2 shown]
	v_mul_f16_e32 v70, 0x3b76, v20
	v_add_f16_e32 v59, v72, v59
	v_sub_f16_e32 v57, v57, v90
	v_add_f16_e32 v56, v60, v56
	v_add_f16_e32 v60, v73, v62
	v_sub_f16_e32 v51, v70, v51
	v_mul_f16_e32 v62, 0x39e9, v27
	v_mul_f16_e32 v70, 0x3722, v52
	v_fma_f16 v27, v35, 0x3722, -v137
	v_add_f16_e32 v56, v60, v56
	v_add_f16_e32 v51, v51, v8
	v_sub_f16_e32 v53, v62, v53
	v_mul_f16_e32 v60, 0x3722, v23
	v_add_f16_e32 v62, v79, v70
	v_alignbit_b32 v70, v8, v8, 16
	v_fmac_f16_e32 v172, 0x3722, v25
	v_add_f16_e32 v51, v53, v51
	v_sub_f16_e32 v55, v60, v55
	v_mul_f16_e32 v60, 0x2de8, v25
	v_add_f16_e32 v56, v62, v56
	v_mul_f16_e32 v62, 0xb461, v28
	v_pk_add_f16 v9, v9, v70 op_sel:[0,1] op_sel_hi:[1,0]
	v_add_f16_e32 v51, v55, v51
	v_sub_f16_e32 v58, v60, v58
	v_mul_f16_e32 v55, 0xbacd, v34
	v_mul_f16_e32 v60, 0xbbdd, v48
	v_pk_add_f16 v9, v46, v9
	v_mul_f16_e32 v53, 0x3b76, v54
	v_add_f16_e32 v51, v58, v51
	v_sub_f16_e32 v58, v62, v61
	v_fma_f16 v62, v29, 0xbacd, -v134
	v_sub_f16_e32 v55, v55, v69
	v_pk_add_f16 v9, v18, v9
	v_add_f16_e32 v93, v93, v161
	v_add_f16_e32 v51, v58, v51
	v_sub_f16_e32 v58, v71, v63
	v_add_f16_sdwa v62, v62, v8 dst_sel:DWORD dst_unused:UNUSED_PAD src0_sel:DWORD src1_sel:WORD_1
	v_fma_f16 v71, v19, 0x3722, -v132
	v_pk_add_f16 v9, v15, v9
	v_fma_f16 v15, v29, 0xb8d2, -v147
	v_add_f16_e32 v51, v58, v51
	v_fma_f16 v29, v29, 0xb461, -v162
	v_add_f16_e32 v58, v71, v62
	v_fma_f16 v62, v32, 0x2de8, -v144
	v_add_f16_sdwa v15, v15, v8 dst_sel:DWORD dst_unused:UNUSED_PAD src0_sel:DWORD src1_sel:WORD_1
	v_add_f16_e32 v51, v55, v51
	v_sub_f16_e32 v55, v60, v75
	v_pk_add_f16 v9, v16, v9
	v_add_f16_e32 v46, v62, v58
	v_fma_f16 v58, v35, 0xb8d2, -v141
	v_add_f16_sdwa v29, v29, v8 dst_sel:DWORD dst_unused:UNUSED_PAD src0_sel:DWORD src1_sel:WORD_1
	v_add_f16_e32 v51, v55, v51
	v_add_f16_e32 v55, v128, v8
	v_pk_add_f16 v9, v10, v9
	v_add_f16_e32 v18, v58, v46
	v_fma_f16 v46, v49, 0x3b76, -v143
	v_fma_f16 v58, v19, 0xb461, -v148
	v_add_f16_e32 v55, v123, v55
	v_pk_add_f16 v9, v11, v9
	v_fma_f16 v161, v28, 0xbbdd, -v87
	v_add_f16_e32 v18, v46, v18
	v_fma_f16 v46, v50, 0xbbdd, -v136
	v_add_f16_e32 v15, v58, v15
	;; [unrolled: 2-line block ×5, first 2 shown]
	v_add_f16_e32 v58, v158, v8
	v_add_f16_e32 v8, v171, v8
	v_pk_add_f16 v6, v6, v9
	v_add_f16_e32 v16, v46, v18
	v_add_f16_e32 v18, v124, v55
	v_fma_f16 v55, v54, 0xb461, -v153
	v_add_f16_e32 v58, v159, v58
	v_add_f16_e32 v8, v170, v8
	v_fma_f16 v9, v49, 0xbbdd, -v138
	v_pk_add_f16 v6, v7, v6
	v_add_f16_e32 v16, v55, v16
	v_add_f16_e32 v55, v160, v58
	v_fma_f16 v58, v19, 0xbacd, -v165
	v_add_f16_e32 v8, v142, v8
	v_mul_f16_sdwa v164, v30, v164 dst_sel:DWORD dst_unused:UNUSED_PAD src0_sel:WORD_1 src1_sel:DWORD
	v_add_f16_e32 v57, v57, v59
	v_mul_f16_e32 v59, 0xbacd, v48
	v_add_f16_e32 v29, v58, v29
	v_add_f16_e32 v53, v86, v53
	v_fma_f16 v46, v35, 0xbacd, -v151
	v_add_f16_e32 v8, v172, v8
	v_fmac_f16_e32 v87, 0xbbdd, v28
	v_add_f16_e32 v10, v32, v29
	v_pk_add_f16 v4, v4, v6
	v_add_f16_e32 v93, v161, v93
	v_fma_f16 v161, v31, 0x2de8, -v164
	v_sub_f16_e32 v59, v59, v105
	v_add_f16_e32 v10, v27, v10
	v_add_f16_e32 v53, v53, v56
	v_bfi_b32 v56, 0xffff, v96, v91
	v_add_f16_e32 v15, v46, v15
	v_fma_f16 v46, v49, 0x2de8, -v145
	v_add_f16_e32 v7, v9, v10
	v_fma_f16 v9, v50, 0x2de8, -v139
	v_add_f16_e32 v8, v87, v8
	v_pk_add_f16 v4, v5, v4
	v_fmac_f16_e32 v164, 0x2de8, v31
	v_add_f16_e32 v57, v59, v57
	v_add_f16_e32 v7, v9, v7
	v_fma_f16 v9, v52, 0x3b76, -v140
	v_bfi_b32 v59, 0xffff, v100, v92
	v_add_f16_e32 v15, v46, v15
	v_fma_f16 v46, v50, 0x39e9, -v146
	v_pk_add_f16 v2, v2, v4
	v_add_f16_e32 v5, v9, v7
	v_fma_f16 v7, v54, 0xb8d2, -v168
	v_add_f16_e32 v4, v164, v8
	v_pk_add_f16 v8, v56, v70
	v_bfi_b32 v61, 0xffff, v102, v95
	v_add_f16_e32 v15, v46, v15
	v_fma_f16 v46, v52, 0xbbdd, -v154
	v_fmac_f16_e32 v163, 0xbacd, v25
	v_pk_add_f16 v2, v3, v2
	v_add_f16_e32 v3, v7, v5
	v_pk_add_f16 v5, v59, v8
	v_bfi_b32 v72, 0xffff, v99, v94
	v_add_f16_e32 v15, v46, v15
	v_fma_f16 v46, v54, 0x3722, -v167
	v_add_f16_e32 v55, v163, v55
	v_fmac_f16_e32 v152, 0x2de8, v28
	v_pk_add_f16 v0, v0, v2
	v_mov_b32_e32 v2, 2
	v_pk_add_f16 v5, v61, v5
	v_pk_mul_f16 v7, 0xbbdd, v20 op_sel_hi:[0,1]
	v_add_f16_e32 v15, v46, v15
	v_add_f16_e32 v46, v152, v55
	v_fmac_f16_e32 v133, 0x39e9, v31
	v_pk_add_f16 v0, v1, v0
	v_lshlrev_b32_sdwa v1, v2, v41 dst_sel:DWORD dst_unused:UNUSED_PAD src0_sel:DWORD src1_sel:WORD_0
	v_pk_add_f16 v2, v72, v5
	v_pk_fma_f16 v5, 0xb1e1, v17, v7 op_sel:[0,0,1] op_sel_hi:[0,1,0] neg_lo:[0,1,0] neg_hi:[0,1,0]
	v_pk_mul_f16 v8, 0x35c8, v21 op_sel_hi:[0,1]
	v_pk_fma_f16 v7, 0xb1e1, v17, v7 op_sel:[0,0,1] op_sel_hi:[0,1,0]
	v_add_f16_e32 v11, v133, v46
	v_fmac_f16_e32 v129, 0xbbdd, v34
	v_pk_add_f16 v5, v5, v70
	v_pk_fma_f16 v9, 0x3b76, v19, v8 op_sel_hi:[0,1,1] neg_lo:[0,0,1] neg_hi:[0,0,1]
	v_pk_mul_f16 v10, 0xbacd, v23 op_sel_hi:[0,1]
	v_pk_add_f16 v7, v7, v70
	v_pk_fma_f16 v8, 0x3b76, v19, v8 op_sel_hi:[0,1,1]
	v_add_f16_e32 v6, v129, v11
	v_pk_add_f16 v5, v9, v5
	v_pk_fma_f16 v9, 0xb836, v22, v10 op_sel:[0,0,1] op_sel_hi:[0,1,0] neg_lo:[0,1,0] neg_hi:[0,1,0]
	v_pk_mul_f16 v11, 0x39e9, v25 op_sel_hi:[0,1]
	v_pk_add_f16 v7, v8, v7
	v_pk_fma_f16 v8, 0xb836, v22, v10 op_sel:[0,0,1] op_sel_hi:[0,1,0]
	v_bfi_b32 v63, 0xffff, v103, v98
	v_pk_add_f16 v5, v9, v5
	v_pk_fma_f16 v9, 0x3964, v24, v11 op_sel:[0,0,1] op_sel_hi:[0,1,0] neg_lo:[0,1,0] neg_hi:[0,1,0]
	v_pk_mul_f16 v10, 0xb8d2, v28 op_sel_hi:[0,1]
	v_pk_add_f16 v7, v8, v7
	v_pk_fma_f16 v8, 0x3964, v24, v11 op_sel:[0,0,1] op_sel_hi:[0,1,0]
	v_bfi_b32 v73, 0xffff, v107, v104
	v_pk_add_f16 v2, v63, v2
	v_pk_add_f16 v5, v9, v5
	v_pk_fma_f16 v9, 0xba62, v26, v10 op_sel:[0,0,1] op_sel_hi:[0,1,0] neg_lo:[0,1,0] neg_hi:[0,1,0]
	v_pk_mul_f16 v11, 0x3722, v31 op_sel_hi:[0,1]
	v_pk_add_f16 v7, v8, v7
	v_pk_fma_f16 v8, 0xba62, v26, v10 op_sel:[0,0,1] op_sel_hi:[0,1,0]
	v_fmac_f16_e32 v121, 0x3b76, v28
	v_mul_f16_sdwa v66, v33, v66 dst_sel:DWORD dst_unused:UNUSED_PAD src0_sel:WORD_1 src1_sel:DWORD
	v_bfi_b32 v69, 0xffff, v108, v106
	v_pk_add_f16 v0, v13, v0
	v_pk_add_f16 v2, v73, v2
	;; [unrolled: 1-line block ×3, first 2 shown]
	v_pk_fma_f16 v9, 0x3b29, v30, v11 op_sel:[0,0,1] op_sel_hi:[0,1,0] neg_lo:[0,1,0] neg_hi:[0,1,0]
	v_pk_mul_f16 v13, 0xb461, v34 op_sel_hi:[0,1]
	v_pk_add_f16 v7, v8, v7
	v_pk_fma_f16 v8, 0x3b29, v30, v11 op_sel:[0,0,1] op_sel_hi:[0,1,0]
	v_mul_f16_e32 v74, 0xbacd, v54
	v_add_f16_e32 v18, v121, v18
	v_fmac_f16_e32 v126, 0xbbdd, v31
	v_add_f16_e32 v93, v161, v93
	v_fma_f16 v117, v34, 0x3b76, -v66
	v_mul_f16_sdwa v67, v36, v67 dst_sel:DWORD dst_unused:UNUSED_PAD src0_sel:WORD_1 src1_sel:DWORD
	v_bfi_b32 v60, 0xffff, v111, v109
	v_pk_add_f16 v2, v69, v2
	v_pk_add_f16 v5, v9, v5
	v_pk_fma_f16 v9, 0xbbb2, v33, v13 op_sel:[0,0,1] op_sel_hi:[0,1,0] neg_lo:[0,1,0] neg_hi:[0,1,0]
	v_pk_mul_f16 v11, 0x2de8, v48 op_sel_hi:[0,1]
	v_pk_add_f16 v7, v8, v7
	v_pk_fma_f16 v8, 0xbbb2, v33, v13 op_sel:[0,0,1] op_sel_hi:[0,1,0]
	v_add_f16_e32 v74, v119, v74
	v_add_f16_e32 v18, v126, v18
	v_fmac_f16_e32 v130, 0x39e9, v34
	v_add_f16_e32 v93, v117, v93
	v_fma_f16 v112, v48, 0xb8d2, -v67
	v_fmac_f16_e32 v66, 0x3b76, v34
	v_pk_add_f16 v2, v60, v2
	v_pk_add_f16 v5, v9, v5
	v_pk_fma_f16 v9, 0x3bf7, v36, v11 op_sel:[0,0,1] op_sel_hi:[0,1,0] neg_lo:[0,1,0] neg_hi:[0,1,0]
	v_pk_add_f16 v7, v8, v7
	v_pk_fma_f16 v8, 0x3bf7, v36, v11 op_sel:[0,0,1] op_sel_hi:[0,1,0]
	v_add_f16_e32 v65, v74, v65
	v_add_f16_e32 v18, v130, v18
	v_fmac_f16_e32 v135, 0xb461, v48
	v_fmac_f16_e32 v127, 0x3722, v48
	v_add_f16_e32 v84, v112, v93
	v_add_f16_e32 v4, v66, v4
	v_fmac_f16_e32 v67, 0xb8d2, v48
	v_alignbit_b32 v10, v53, v2, 16
	v_pack_b32_f16 v2, v51, v2
	v_pk_add_f16 v5, v9, v5
	v_pk_add_f16 v7, v8, v7
	v_add_f16_e32 v18, v135, v18
	v_add_f16_e32 v6, v127, v6
	v_pack_b32_f16 v13, v68, v64
	v_pack_b32_f16 v17, v57, v65
	v_add_f16_e32 v4, v67, v4
	v_pack_b32_f16 v11, v113, v110
	v_pack_b32_f16 v19, v84, v80
	;; [unrolled: 1-line block ×3, first 2 shown]
	ds_write2_b32 v1, v2, v10 offset0:1 offset1:2
	ds_write2_b32 v1, v17, v13 offset0:3 offset1:4
	;; [unrolled: 1-line block ×3, first 2 shown]
	ds_write2_b32 v1, v0, v20 offset1:7
	v_alignbit_b32 v0, v5, v7, 16
	v_alignbit_b32 v2, v7, v5, 16
	v_pack_b32_f16 v5, v6, v15
	v_pack_b32_f16 v6, v18, v16
	;; [unrolled: 1-line block ×3, first 2 shown]
	v_perm_b32 v4, v47, v14, 0x5040100
	v_perm_b32 v7, v43, v45, 0x5040100
	v_perm_b32 v8, v38, v37, 0x5040100
	v_perm_b32 v9, v44, v42, 0x5040100
	ds_write2_b32 v1, v2, v0 offset0:8 offset1:9
	ds_write2_b32 v1, v6, v5 offset0:10 offset1:11
	;; [unrolled: 1-line block ×4, first 2 shown]
	ds_write_b32 v1, v9 offset:64
.LBB0_7:
	s_or_b32 exec_lo, exec_lo, s4
	v_and_b32_e32 v0, 0xff, v40
	s_load_dwordx4 s[4:7], s[0:1], 0x0
	s_waitcnt lgkmcnt(0)
	s_barrier
	buffer_gl0_inv
	v_mul_lo_u16 v0, 0xf1, v0
	v_add_nc_u32_e32 v48, 0x400, v39
	v_add_nc_u32_e32 v13, 0x600, v39
	v_cmp_gt_u16_e64 s0, 17, v40
	v_lshrrev_b16 v18, 12, v0
	v_mul_lo_u16 v0, v18, 17
	v_sub_nc_u16 v0, v40, v0
	v_and_b32_e32 v17, 0xff, v0
	v_mul_u32_u24_e32 v0, 12, v17
	v_lshlrev_b32_e32 v0, 2, v0
	s_clause 0x2
	global_load_dwordx4 v[8:11], v0, s[2:3]
	global_load_dwordx4 v[4:7], v0, s[2:3] offset:16
	global_load_dwordx4 v[0:3], v0, s[2:3] offset:32
	ds_read2_b32 v[15:16], v39 offset1:51
	ds_read2_b32 v[26:27], v39 offset0:102 offset1:153
	ds_read2_b32 v[28:29], v39 offset0:204 offset1:255
	ds_read_b32 v46, v39 offset:2448
	ds_read2_b32 v[35:36], v48 offset0:50 offset1:101
	ds_read2_b32 v[49:50], v48 offset0:152 offset1:203
	;; [unrolled: 1-line block ×3, first 2 shown]
	s_waitcnt vmcnt(0) lgkmcnt(0)
	s_barrier
	buffer_gl0_inv
	v_lshrrev_b32_e32 v55, 16, v46
	v_lshrrev_b32_e32 v24, 16, v16
	;; [unrolled: 1-line block ×12, first 2 shown]
	v_mul_f16_sdwa v34, v24, v8 dst_sel:DWORD dst_unused:UNUSED_PAD src0_sel:DWORD src1_sel:WORD_1
	v_mul_f16_sdwa v63, v30, v9 dst_sel:DWORD dst_unused:UNUSED_PAD src0_sel:DWORD src1_sel:WORD_1
	;; [unrolled: 1-line block ×5, first 2 shown]
	v_fma_f16 v76, v16, v8, -v34
	v_mul_f16_sdwa v13, v35, v5 dst_sel:DWORD dst_unused:UNUSED_PAD src0_sel:DWORD src1_sel:WORD_1
	v_fma_f16 v63, v26, v9, -v63
	v_fma_f16 v16, v35, v5, -v69
	v_mul_f16_sdwa v66, v27, v10 dst_sel:DWORD dst_unused:UNUSED_PAD src0_sel:DWORD src1_sel:WORD_1
	v_add_f16_e32 v35, v15, v76
	v_mul_f16_sdwa v67, v53, v11 dst_sel:DWORD dst_unused:UNUSED_PAD src0_sel:DWORD src1_sel:WORD_1
	v_mul_f16_sdwa v68, v54, v4 dst_sel:DWORD dst_unused:UNUSED_PAD src0_sel:DWORD src1_sel:WORD_1
	v_mul_f16_sdwa v72, v59, v0 dst_sel:DWORD dst_unused:UNUSED_PAD src0_sel:DWORD src1_sel:WORD_1
	v_mul_f16_sdwa v23, v46, v3 dst_sel:DWORD dst_unused:UNUSED_PAD src0_sel:DWORD src1_sel:WORD_1
	v_fma_f16 v65, v27, v10, -v65
	v_add_f16_e32 v35, v35, v63
	v_mul_f16_sdwa v64, v26, v9 dst_sel:DWORD dst_unused:UNUSED_PAD src0_sel:DWORD src1_sel:WORD_1
	v_mul_f16_sdwa v31, v29, v4 dst_sel:DWORD dst_unused:UNUSED_PAD src0_sel:DWORD src1_sel:WORD_1
	v_mul_f16_sdwa v70, v57, v6 dst_sel:DWORD dst_unused:UNUSED_PAD src0_sel:DWORD src1_sel:WORD_1
	v_mul_f16_sdwa v71, v58, v7 dst_sel:DWORD dst_unused:UNUSED_PAD src0_sel:DWORD src1_sel:WORD_1
	v_mul_f16_sdwa v73, v60, v1 dst_sel:DWORD dst_unused:UNUSED_PAD src0_sel:DWORD src1_sel:WORD_1
	v_mul_f16_sdwa v21, v51, v1 dst_sel:DWORD dst_unused:UNUSED_PAD src0_sel:DWORD src1_sel:WORD_1
	v_fmac_f16_e32 v62, v24, v8
	v_fmac_f16_e32 v66, v33, v10
	v_fma_f16 v34, v28, v11, -v67
	v_fma_f16 v33, v29, v4, -v68
	;; [unrolled: 1-line block ×3, first 2 shown]
	v_fmac_f16_e32 v23, v55, v3
	v_add_f16_e32 v35, v35, v65
	v_mul_f16_sdwa v32, v28, v11 dst_sel:DWORD dst_unused:UNUSED_PAD src0_sel:DWORD src1_sel:WORD_1
	v_mul_f16_sdwa v19, v36, v6 dst_sel:DWORD dst_unused:UNUSED_PAD src0_sel:DWORD src1_sel:WORD_1
	v_mul_f16_sdwa v25, v49, v7 dst_sel:DWORD dst_unused:UNUSED_PAD src0_sel:DWORD src1_sel:WORD_1
	v_mul_f16_sdwa v74, v61, v2 dst_sel:DWORD dst_unused:UNUSED_PAD src0_sel:DWORD src1_sel:WORD_1
	v_mul_f16_sdwa v22, v52, v2 dst_sel:DWORD dst_unused:UNUSED_PAD src0_sel:DWORD src1_sel:WORD_1
	v_mul_f16_sdwa v75, v55, v3 dst_sel:DWORD dst_unused:UNUSED_PAD src0_sel:DWORD src1_sel:WORD_1
	v_fmac_f16_e32 v64, v30, v9
	v_fma_f16 v24, v36, v6, -v70
	v_fma_f16 v30, v49, v7, -v71
	;; [unrolled: 1-line block ×3, first 2 shown]
	v_fmac_f16_e32 v21, v60, v1
	v_add_f16_sdwa v36, v15, v62 dst_sel:DWORD dst_unused:UNUSED_PAD src0_sel:WORD_1 src1_sel:DWORD
	v_add_f16_e32 v49, v62, v23
	v_sub_f16_e32 v51, v62, v23
	v_add_f16_e32 v60, v34, v29
	v_sub_f16_e32 v62, v34, v29
	v_add_f16_e32 v34, v35, v34
	v_fma_f16 v27, v52, v2, -v74
	v_fma_f16 v26, v46, v3, -v75
	v_fmac_f16_e32 v22, v61, v2
	v_add_f16_e32 v68, v33, v30
	v_sub_f16_e32 v70, v33, v30
	v_add_f16_e32 v33, v34, v33
	v_mul_f16_sdwa v20, v50, v0 dst_sel:DWORD dst_unused:UNUSED_PAD src0_sel:DWORD src1_sel:WORD_1
	v_fmac_f16_e32 v31, v54, v4
	v_add_f16_e32 v46, v76, v26
	v_sub_f16_e32 v50, v76, v26
	v_add_f16_e32 v52, v63, v27
	v_sub_f16_e32 v54, v63, v27
	v_sub_f16_e32 v55, v64, v22
	v_add_f16_e32 v36, v36, v64
	v_mul_f16_e32 v63, 0xb770, v51
	v_add_f16_e32 v33, v33, v16
	v_fmac_f16_e32 v32, v53, v11
	v_fmac_f16_e32 v13, v56, v5
	;; [unrolled: 1-line block ×4, first 2 shown]
	v_add_f16_e32 v53, v64, v22
	v_add_f16_e32 v56, v65, v28
	v_sub_f16_e32 v58, v65, v28
	v_sub_f16_e32 v59, v66, v21
	v_mul_f16_e32 v64, 0xb770, v50
	v_mul_f16_e32 v74, 0xba95, v51
	;; [unrolled: 1-line block ×12, first 2 shown]
	v_add_f16_e32 v36, v36, v66
	v_fma_f16 v65, v46, 0x3b15, -v63
	v_add_f16_e32 v33, v33, v24
	v_fmac_f16_e32 v19, v57, v6
	v_add_f16_e32 v57, v66, v21
	v_add_f16_e32 v61, v32, v20
	v_sub_f16_e32 v67, v32, v20
	v_mul_f16_e32 v83, 0xba95, v54
	v_mul_f16_e32 v84, 0xbb7b, v55
	;; [unrolled: 1-line block ×12, first 2 shown]
	v_fmamk_f16 v66, v49, 0x3b15, v64
	v_fmac_f16_e32 v63, 0x3b15, v46
	v_fma_f16 v64, v49, 0x3b15, -v64
	v_fma_f16 v123, v46, 0x388b, -v74
	v_fmamk_f16 v124, v49, 0x388b, v75
	v_fmac_f16_e32 v74, 0x388b, v46
	v_fma_f16 v75, v49, 0x388b, -v75
	v_fma_f16 v125, v46, 0x2fb7, -v76
	;; [unrolled: 4-line block ×6, first 2 shown]
	v_add_f16_e32 v32, v36, v32
	v_add_f16_e32 v35, v15, v65
	;; [unrolled: 1-line block ×4, first 2 shown]
	v_sub_f16_e32 v71, v31, v25
	v_mul_f16_e32 v93, 0xbbf1, v58
	v_mul_f16_e32 v94, 0xb3a8, v59
	;; [unrolled: 1-line block ×12, first 2 shown]
	v_fmamk_f16 v50, v53, 0x388b, v83
	v_fmac_f16_e32 v82, 0x388b, v52
	v_fma_f16 v83, v53, 0x388b, -v83
	v_fma_f16 v133, v52, 0xb5ac, -v84
	v_fmamk_f16 v134, v53, 0xb5ac, v85
	v_fmac_f16_e32 v84, 0xb5ac, v52
	v_fma_f16 v85, v53, 0xb5ac, -v85
	v_fma_f16 v135, v52, 0xbbc4, -v86
	v_fmamk_f16 v136, v53, 0xbbc4, v87
	v_fmac_f16_e32 v86, 0xbbc4, v52
	v_fma_f16 v87, v53, 0xbbc4, -v87
	v_fma_f16 v137, v52, 0xb9fd, -v88
	v_fmamk_f16 v138, v53, 0xb9fd, v89
	v_fmac_f16_e32 v88, 0xb9fd, v52
	v_fma_f16 v89, v53, 0xb9fd, -v89
	v_fma_f16 v139, v52, 0x2fb7, -v90
	v_fmamk_f16 v140, v53, 0x2fb7, v91
	v_fmac_f16_e32 v90, 0x2fb7, v52
	v_fma_f16 v91, v53, 0x2fb7, -v91
	v_fma_f16 v141, v52, 0x3b15, -v55
	v_fmamk_f16 v142, v53, 0x3b15, v54
	v_fmac_f16_e32 v55, 0x3b15, v52
	v_fma_f16 v52, v53, 0x3b15, -v54
	v_fma_f16 v53, v56, 0x2fb7, -v92
	v_add_f16_sdwa v36, v15, v66 dst_sel:DWORD dst_unused:UNUSED_PAD src0_sel:WORD_1 src1_sel:DWORD
	v_add_f16_e32 v63, v15, v63
	v_add_f16_sdwa v64, v15, v64 dst_sel:DWORD dst_unused:UNUSED_PAD src0_sel:WORD_1 src1_sel:DWORD
	v_add_f16_e32 v65, v15, v123
	;; [unrolled: 2-line block ×12, first 2 shown]
	v_add_f16_e32 v32, v49, v35
	v_add_f16_e32 v29, v30, v29
	v_sub_f16_e32 v73, v13, v19
	v_mul_f16_e32 v103, 0xbb7b, v62
	v_mul_f16_e32 v104, 0x394e, v67
	;; [unrolled: 1-line block ×12, first 2 shown]
	v_fmamk_f16 v54, v57, 0x2fb7, v93
	v_fmac_f16_e32 v92, 0x2fb7, v56
	v_fma_f16 v93, v57, 0x2fb7, -v93
	v_fma_f16 v143, v56, 0xbbc4, -v94
	v_fmamk_f16 v144, v57, 0xbbc4, v95
	v_fmac_f16_e32 v94, 0xbbc4, v56
	v_fma_f16 v95, v57, 0xbbc4, -v95
	v_fma_f16 v145, v56, 0xb5ac, -v96
	;; [unrolled: 4-line block ×6, first 2 shown]
	v_add_f16_e32 v34, v50, v36
	v_add_f16_e32 v35, v82, v63
	;; [unrolled: 1-line block ×17, first 2 shown]
	v_mul_f16_e32 v113, 0xb94e, v70
	v_mul_f16_e32 v115, 0x3bf1, v70
	;; [unrolled: 1-line block ×9, first 2 shown]
	v_fmamk_f16 v58, v61, 0xb5ac, v103
	v_fmac_f16_e32 v102, 0xb5ac, v60
	v_fma_f16 v103, v61, 0xb5ac, -v103
	v_fma_f16 v153, v60, 0xb9fd, -v104
	v_fmamk_f16 v154, v61, 0xb9fd, v105
	v_fmac_f16_e32 v104, 0xb9fd, v60
	v_fma_f16 v105, v61, 0xb9fd, -v105
	v_fma_f16 v155, v60, 0x3b15, -v106
	;; [unrolled: 4-line block ×6, first 2 shown]
	v_add_f16_e32 v51, v55, v51
	v_add_f16_e32 v34, v54, v34
	;; [unrolled: 1-line block ×14, first 2 shown]
	v_sub_f16_e32 v16, v16, v24
	v_mul_f16_e32 v114, 0x3bf1, v71
	v_fmamk_f16 v62, v69, 0xb9fd, v113
	v_fma_f16 v113, v69, 0xb9fd, -v113
	v_fmamk_f16 v164, v69, 0x2fb7, v115
	v_fma_f16 v115, v69, 0x2fb7, -v115
	v_fma_f16 v165, v68, 0x388b, -v116
	v_fmamk_f16 v166, v69, 0x388b, v117
	v_fmac_f16_e32 v116, 0x388b, v68
	v_fma_f16 v117, v69, 0x388b, -v117
	v_fma_f16 v167, v68, 0xbbc4, -v118
	v_fmac_f16_e32 v118, 0xbbc4, v68
	v_add_f16_e32 v35, v92, v35
	v_add_f16_e32 v46, v143, v46
	;; [unrolled: 1-line block ×17, first 2 shown]
	v_fma_f16 v24, v69, 0xb5ac, -v70
	v_fma_f16 v27, v72, 0xbbc4, -v122
	v_add_f16_e32 v19, v13, v19
	v_mul_f16_e32 v13, 0xb3a8, v16
	v_fmac_f16_e32 v112, 0xb9fd, v68
	v_fma_f16 v163, v68, 0x2fb7, -v114
	v_fmac_f16_e32 v114, 0x2fb7, v68
	v_add_f16_e32 v35, v102, v35
	v_add_f16_e32 v46, v153, v46
	;; [unrolled: 1-line block ×14, first 2 shown]
	v_mul_f16_e32 v27, 0x3770, v73
	v_fmamk_f16 v31, v19, 0xbbc4, v13
	v_mul_f16_e32 v59, 0x3770, v16
	v_add_f16_e32 v75, v137, v125
	v_add_f16_e32 v33, v112, v35
	;; [unrolled: 1-line block ×4, first 2 shown]
	v_fmac_f16_e32 v122, 0xbbc4, v72
	v_fma_f16 v50, v19, 0xbbc4, -v13
	v_fma_f16 v60, v72, 0x3b15, -v27
	v_add_f16_e32 v31, v31, v32
	v_fmamk_f16 v32, v19, 0x3b15, v59
	v_add_f16_e32 v76, v138, v126
	v_add_f16_e32 v78, v89, v79
	;; [unrolled: 1-line block ×6, first 2 shown]
	v_mul_f16_e32 v34, 0xb94e, v73
	v_fmac_f16_e32 v27, 0x3b15, v72
	v_fma_f16 v35, v19, 0x3b15, -v59
	v_add_f16_e32 v32, v32, v36
	v_mul_f16_e32 v36, 0xb94e, v16
	v_add_f16_e32 v82, v140, v128
	v_add_f16_e32 v81, v91, v81
	;; [unrolled: 1-line block ×5, first 2 shown]
	v_fma_f16 v59, v72, 0xb9fd, -v34
	v_add_f16_e32 v27, v27, v46
	v_add_f16_e32 v35, v35, v49
	v_mul_f16_e32 v46, 0x3a95, v73
	v_fmamk_f16 v49, v19, 0xb9fd, v36
	v_fmamk_f16 v168, v69, 0xbbc4, v119
	v_fma_f16 v119, v69, 0xbbc4, -v119
	v_add_f16_e32 v80, v90, v80
	v_add_f16_e32 v76, v150, v82
	;; [unrolled: 1-line block ×8, first 2 shown]
	v_fma_f16 v36, v19, 0xb9fd, -v36
	v_fma_f16 v59, v72, 0x388b, -v46
	v_add_f16_e32 v49, v49, v53
	v_mul_f16_e32 v53, 0x3a95, v16
	v_mul_f16_e32 v120, 0x3770, v71
	v_fmamk_f16 v170, v69, 0x3b15, v121
	v_fma_f16 v121, v69, 0x3b15, -v121
	v_add_f16_e32 v79, v139, v127
	v_add_f16_e32 v77, v100, v80
	;; [unrolled: 1-line block ×7, first 2 shown]
	v_fmac_f16_e32 v34, 0xb9fd, v72
	v_add_f16_e32 v36, v36, v55
	v_add_f16_e32 v25, v59, v25
	v_fmamk_f16 v55, v19, 0x388b, v53
	v_fmac_f16_e32 v46, 0x388b, v72
	v_mul_f16_e32 v59, 0xbb7b, v16
	v_fma_f16 v53, v19, 0x388b, -v53
	v_add_f16_e32 v83, v141, v129
	v_add_f16_e32 v84, v142, v130
	v_mul_f16_e32 v71, 0xbb7b, v71
	v_fma_f16 v169, v68, 0x3b15, -v120
	v_fmac_f16_e32 v120, 0x3b15, v68
	v_add_f16_e32 v75, v149, v79
	v_add_f16_e32 v66, v110, v77
	;; [unrolled: 1-line block ×5, first 2 shown]
	v_mul_f16_e32 v54, 0xbb7b, v73
	v_add_f16_e32 v30, v55, v30
	v_add_f16_e32 v55, v46, v56
	v_fmamk_f16 v46, v19, 0xb5ac, v59
	v_add_f16_e32 v21, v53, v21
	v_fma_f16 v53, v19, 0xb5ac, -v59
	v_add_f16_e32 v79, v151, v83
	v_add_f16_e32 v80, v152, v84
	v_fma_f16 v171, v68, 0xb5ac, -v71
	v_add_f16_e32 v64, v159, v75
	v_add_f16_e32 v51, v67, v51
	v_add_f16_e32 v20, v20, v22
	v_add_f16_e32 v22, v120, v66
	v_fmac_f16_e32 v71, 0xb5ac, v68
	v_fma_f16 v60, v72, 0xb5ac, -v54
	v_fmac_f16_e32 v54, 0xb5ac, v72
	v_add_f16_e32 v56, v46, v57
	v_mul_f16_e32 v46, 0x3bf1, v73
	v_mul_f16_e32 v16, 0x3bf1, v16
	v_add_f16_e32 v28, v53, v28
	v_mov_b32_e32 v53, 0xdd
	v_fmamk_f16 v172, v69, 0xb5ac, v70
	v_add_f16_e32 v75, v161, v79
	v_add_f16_e32 v76, v162, v80
	;; [unrolled: 1-line block ×6, first 2 shown]
	v_fma_f16 v54, v72, 0x2fb7, -v46
	v_fmamk_f16 v57, v19, 0x2fb7, v16
	v_fmac_f16_e32 v46, 0x2fb7, v72
	v_fma_f16 v16, v19, 0x2fb7, -v16
	v_mul_u32_u24_sdwa v18, v18, v53 dst_sel:DWORD dst_unused:UNUSED_PAD src0_sel:WORD_0 src1_sel:DWORD
	v_add_f16_e32 v58, v171, v75
	v_add_f16_e32 v23, v172, v76
	;; [unrolled: 1-line block ×5, first 2 shown]
	v_add_lshl_u32 v46, v18, v17, 2
	v_pack_b32_f16 v16, v26, v20
	v_pack_b32_f16 v17, v24, v31
	v_add_f16_e32 v19, v54, v58
	v_add_f16_e32 v23, v57, v23
	v_pack_b32_f16 v18, v33, v32
	v_pack_b32_f16 v20, v52, v49
	ds_write2_b32 v46, v16, v17 offset1:17
	ds_write2_b32 v46, v18, v20 offset0:34 offset1:51
	v_pack_b32_f16 v16, v25, v30
	v_pack_b32_f16 v17, v29, v56
	v_add_nc_u32_e32 v49, 0x200, v39
	v_pack_b32_f16 v18, v19, v23
	v_pack_b32_f16 v15, v51, v15
	;; [unrolled: 1-line block ×7, first 2 shown]
	v_add_nc_u32_e32 v65, 0x800, v39
	ds_write2_b32 v46, v16, v17 offset0:68 offset1:85
	ds_write2_b32 v46, v18, v15 offset0:102 offset1:119
	;; [unrolled: 1-line block ×4, first 2 shown]
	ds_write_b32 v46, v23 offset:816
	s_waitcnt lgkmcnt(0)
	s_barrier
	buffer_gl0_inv
	ds_read2_b32 v[27:28], v39 offset1:51
	ds_read2_b32 v[35:36], v49 offset0:93 offset1:144
	ds_read2_b32 v[33:34], v48 offset0:186 offset1:237
	;; [unrolled: 1-line block ×5, first 2 shown]
	s_and_saveexec_b32 s1, s0
	s_cbranch_execz .LBB0_9
; %bb.8:
	v_add_nc_u32_e32 v13, 0x300, v39
	ds_read2_b32 v[13:14], v13 offset0:12 offset1:233
	ds_read_b32 v37, v39 offset:2584
	s_waitcnt lgkmcnt(1)
	v_lshrrev_b32_e32 v50, 16, v13
	v_lshrrev_b32_e32 v47, 16, v14
	s_waitcnt lgkmcnt(0)
	v_lshrrev_b32_e32 v38, 16, v37
.LBB0_9:
	s_or_b32 exec_lo, exec_lo, s1
	v_lshlrev_b32_e32 v15, 3, v40
	s_waitcnt lgkmcnt(3)
	v_lshrrev_b32_e32 v56, 16, v33
	v_lshrrev_b32_e32 v57, 16, v36
	;; [unrolled: 1-line block ×3, first 2 shown]
	s_waitcnt lgkmcnt(0)
	v_lshrrev_b32_e32 v60, 16, v25
	v_add_nc_u32_e32 v16, 0x198, v15
	v_add_nc_u32_e32 v17, 0x330, v15
	global_load_dwordx2 v[19:20], v15, s[2:3] offset:816
	v_lshrrev_b32_e32 v59, 16, v31
	v_lshrrev_b32_e32 v67, 16, v26
	global_load_dwordx2 v[23:24], v16, s[2:3] offset:816
	v_add_nc_u32_e32 v15, 0x4c8, v15
	v_lshrrev_b32_e32 v61, 16, v32
	v_lshrrev_b32_e32 v53, 16, v29
	s_clause 0x1
	global_load_dwordx2 v[21:22], v17, s[2:3] offset:816
	global_load_dwordx2 v[17:18], v15, s[2:3] offset:816
	v_add_co_u32 v15, s1, 0xcc, v40
	v_add_co_ci_u32_e64 v16, null, 0, 0, s1
	v_add_co_u32 v51, s1, 0xffffffef, v40
	v_add_co_ci_u32_e64 v52, null, 0, -1, s1
	v_lshrrev_b32_e32 v55, 16, v27
	v_cndmask_b32_e64 v15, v51, v15, s0
	v_lshrrev_b32_e32 v51, 16, v35
	v_cndmask_b32_e64 v16, v52, v16, s0
	v_lshrrev_b32_e32 v54, 16, v28
	v_lshrrev_b32_e32 v52, 16, v30
	v_lshlrev_b64 v[15:16], 3, v[15:16]
	v_add_co_u32 v15, s1, s2, v15
	v_add_co_ci_u32_e64 v16, s1, s3, v16, s1
	global_load_dwordx2 v[15:16], v[15:16], off offset:816
	s_waitcnt vmcnt(4)
	v_mul_f16_sdwa v62, v51, v19 dst_sel:DWORD dst_unused:UNUSED_PAD src0_sel:DWORD src1_sel:WORD_1
	v_mul_f16_sdwa v63, v35, v19 dst_sel:DWORD dst_unused:UNUSED_PAD src0_sel:DWORD src1_sel:WORD_1
	v_mul_f16_sdwa v64, v56, v20 dst_sel:DWORD dst_unused:UNUSED_PAD src0_sel:DWORD src1_sel:WORD_1
	v_mul_f16_sdwa v66, v33, v20 dst_sel:DWORD dst_unused:UNUSED_PAD src0_sel:DWORD src1_sel:WORD_1
	v_fma_f16 v35, v35, v19, -v62
	v_fmac_f16_e32 v63, v51, v19
	s_waitcnt vmcnt(3)
	v_mul_f16_sdwa v51, v57, v23 dst_sel:DWORD dst_unused:UNUSED_PAD src0_sel:DWORD src1_sel:WORD_1
	v_mul_f16_sdwa v62, v58, v24 dst_sel:DWORD dst_unused:UNUSED_PAD src0_sel:DWORD src1_sel:WORD_1
	s_waitcnt vmcnt(2)
	v_mul_f16_sdwa v69, v31, v21 dst_sel:DWORD dst_unused:UNUSED_PAD src0_sel:DWORD src1_sel:WORD_1
	v_mul_f16_sdwa v70, v60, v22 dst_sel:DWORD dst_unused:UNUSED_PAD src0_sel:DWORD src1_sel:WORD_1
	;; [unrolled: 1-line block ×3, first 2 shown]
	v_fma_f16 v33, v33, v20, -v64
	v_fmac_f16_e32 v66, v56, v20
	v_mul_f16_sdwa v56, v36, v23 dst_sel:DWORD dst_unused:UNUSED_PAD src0_sel:DWORD src1_sel:WORD_1
	v_mul_f16_sdwa v64, v34, v24 dst_sel:DWORD dst_unused:UNUSED_PAD src0_sel:DWORD src1_sel:WORD_1
	;; [unrolled: 1-line block ×3, first 2 shown]
	s_waitcnt vmcnt(1)
	v_mul_f16_sdwa v74, v67, v18 dst_sel:DWORD dst_unused:UNUSED_PAD src0_sel:DWORD src1_sel:WORD_1
	v_fma_f16 v36, v36, v23, -v51
	v_fma_f16 v34, v34, v24, -v62
	v_fmac_f16_e32 v69, v59, v21
	v_fma_f16 v62, v25, v22, -v70
	v_fmac_f16_e32 v71, v60, v22
	v_add_f16_e32 v25, v27, v35
	v_mul_f16_sdwa v72, v61, v17 dst_sel:DWORD dst_unused:UNUSED_PAD src0_sel:DWORD src1_sel:WORD_1
	v_mul_f16_sdwa v73, v32, v17 dst_sel:DWORD dst_unused:UNUSED_PAD src0_sel:DWORD src1_sel:WORD_1
	;; [unrolled: 1-line block ×3, first 2 shown]
	v_fmac_f16_e32 v56, v57, v23
	v_fmac_f16_e32 v64, v58, v24
	v_fma_f16 v57, v31, v21, -v68
	v_fma_f16 v60, v26, v18, -v74
	v_add_f16_e32 v26, v35, v33
	v_sub_f16_e32 v35, v35, v33
	v_add_f16_e32 v25, v25, v33
	v_add_f16_e32 v33, v36, v34
	v_sub_f16_e32 v68, v69, v71
	v_add_f16_e32 v70, v53, v69
	v_add_f16_e32 v69, v69, v71
	s_waitcnt vmcnt(0)
	v_mul_f16_sdwa v80, v47, v15 dst_sel:DWORD dst_unused:UNUSED_PAD src0_sel:DWORD src1_sel:WORD_1
	v_mul_f16_sdwa v81, v14, v15 dst_sel:DWORD dst_unused:UNUSED_PAD src0_sel:DWORD src1_sel:WORD_1
	;; [unrolled: 1-line block ×4, first 2 shown]
	v_fma_f16 v32, v32, v17, -v72
	v_fmac_f16_e32 v73, v61, v17
	v_fmac_f16_e32 v75, v67, v18
	v_sub_f16_e32 v58, v63, v66
	v_add_f16_e32 v51, v55, v63
	v_add_f16_e32 v59, v63, v66
	v_fma_f16 v31, -0.5, v26, v27
	v_add_f16_e32 v27, v28, v36
	v_sub_f16_e32 v61, v56, v64
	v_add_f16_e32 v63, v54, v56
	v_add_f16_e32 v56, v56, v64
	v_sub_f16_e32 v72, v57, v62
	v_fmac_f16_e32 v28, -0.5, v33
	v_fmac_f16_e32 v53, -0.5, v69
	v_fma_f16 v14, v14, v15, -v80
	v_fmac_f16_e32 v81, v47, v15
	v_fma_f16 v37, v37, v16, -v82
	v_fmac_f16_e32 v83, v38, v16
	v_add_f16_e32 v67, v57, v62
	v_add_f16_e32 v76, v32, v60
	v_sub_f16_e32 v77, v73, v75
	v_add_f16_e32 v78, v52, v73
	v_add_f16_e32 v73, v73, v75
	v_add_f16_e32 v51, v51, v66
	v_fmac_f16_e32 v55, -0.5, v59
	v_sub_f16_e32 v36, v36, v34
	v_add_f16_e32 v66, v29, v57
	v_add_f16_e32 v74, v30, v32
	v_sub_f16_e32 v79, v32, v60
	v_fmamk_f16 v26, v58, 0x3aee, v31
	v_fmac_f16_e32 v31, 0xbaee, v58
	v_add_f16_e32 v32, v27, v34
	v_add_f16_e32 v58, v63, v64
	v_fmac_f16_e32 v54, -0.5, v56
	v_fmamk_f16 v27, v61, 0x3aee, v28
	v_fmac_f16_e32 v28, 0xbaee, v61
	v_fmamk_f16 v61, v72, 0xbaee, v53
	v_fmac_f16_e32 v53, 0x3aee, v72
	v_add_f16_e32 v69, v14, v37
	v_add_f16_e32 v72, v81, v83
	v_fma_f16 v33, -0.5, v67, v29
	v_fmac_f16_e32 v30, -0.5, v76
	v_fmac_f16_e32 v52, -0.5, v73
	v_fmamk_f16 v59, v35, 0xbaee, v55
	v_fmac_f16_e32 v55, 0x3aee, v35
	v_add_f16_e32 v35, v66, v62
	v_add_f16_e32 v57, v70, v71
	v_pack_b32_f16 v63, v25, v51
	v_fmamk_f16 v62, v36, 0xbaee, v54
	v_pack_b32_f16 v38, v32, v58
	v_add_f16_e32 v64, v13, v14
	v_sub_f16_e32 v70, v81, v83
	v_add_f16_e32 v71, v50, v81
	v_sub_f16_e32 v14, v14, v37
	v_fmac_f16_e32 v13, -0.5, v69
	v_fmac_f16_e32 v50, -0.5, v72
	v_fmac_f16_e32 v54, 0x3aee, v36
	v_add_f16_e32 v34, v74, v60
	v_add_f16_e32 v56, v78, v75
	v_fmamk_f16 v36, v68, 0x3aee, v33
	v_fmamk_f16 v29, v77, 0x3aee, v30
	;; [unrolled: 1-line block ×3, first 2 shown]
	v_fmac_f16_e32 v33, 0xbaee, v68
	v_fmac_f16_e32 v30, 0xbaee, v77
	;; [unrolled: 1-line block ×3, first 2 shown]
	v_pack_b32_f16 v47, v26, v59
	ds_write2_b32 v39, v63, v38 offset1:51
	v_pack_b32_f16 v73, v27, v62
	v_add_f16_e32 v37, v64, v37
	v_add_f16_e32 v64, v71, v83
	v_fmamk_f16 v38, v70, 0x3aee, v13
	v_fmac_f16_e32 v13, 0xbaee, v70
	v_fmamk_f16 v63, v14, 0xbaee, v50
	v_fmac_f16_e32 v50, 0x3aee, v14
	v_pack_b32_f16 v66, v31, v55
	v_pack_b32_f16 v74, v28, v54
	;; [unrolled: 1-line block ×8, first 2 shown]
	ds_write2_b32 v49, v47, v73 offset0:93 offset1:144
	ds_write2_b32 v48, v66, v74 offset0:186 offset1:237
	;; [unrolled: 1-line block ×5, first 2 shown]
	s_and_saveexec_b32 s1, s0
	s_cbranch_execz .LBB0_11
; %bb.10:
	v_perm_b32 v14, v64, v37, 0x5040100
	v_perm_b32 v47, v63, v38, 0x5040100
	v_add_nc_u32_e32 v48, 0x300, v39
	v_perm_b32 v49, v50, v13, 0x5040100
	ds_write2_b32 v48, v14, v47 offset0:12 offset1:233
	ds_write_b32 v39, v49 offset:2584
.LBB0_11:
	s_or_b32 exec_lo, exec_lo, s1
	s_waitcnt lgkmcnt(0)
	s_barrier
	buffer_gl0_inv
	s_and_saveexec_b32 s2, vcc_lo
	s_cbranch_execz .LBB0_13
; %bb.12:
	v_add_co_u32 v14, s1, s8, v39
	v_add_co_ci_u32_e64 v49, null, s9, 0, s1
	v_add_nc_u32_e32 v93, 0x400, v39
	v_add_co_u32 v47, s1, 0x800, v14
	v_add_co_ci_u32_e64 v48, s1, 0, v49, s1
	v_add_nc_u32_e32 v94, 0x600, v39
	v_add_nc_u32_e32 v95, 0x800, v39
	global_load_dword v67, v[47:48], off offset:604
	v_add_co_u32 v47, s1, 0xa5c, v14
	v_add_co_ci_u32_e64 v48, s1, 0, v49, s1
	v_add_co_u32 v65, s1, 0x1000, v14
	s_clause 0x8
	global_load_dword v79, v[47:48], off offset:156
	global_load_dword v80, v[47:48], off offset:312
	;; [unrolled: 1-line block ×9, first 2 shown]
	v_add_co_ci_u32_e64 v66, s1, 0, v49, s1
	s_clause 0x6
	global_load_dword v14, v[47:48], off offset:1560
	global_load_dword v49, v[47:48], off offset:1716
	;; [unrolled: 1-line block ×7, first 2 shown]
	ds_read_b32 v47, v39
	s_waitcnt lgkmcnt(0)
	v_lshrrev_b32_e32 v48, 16, v47
	s_waitcnt vmcnt(16)
	v_mul_f16_sdwa v65, v48, v67 dst_sel:DWORD dst_unused:UNUSED_PAD src0_sel:DWORD src1_sel:WORD_1
	v_mul_f16_sdwa v66, v47, v67 dst_sel:DWORD dst_unused:UNUSED_PAD src0_sel:DWORD src1_sel:WORD_1
	v_fma_f16 v47, v47, v67, -v65
	v_fmac_f16_e32 v66, v48, v67
	v_pack_b32_f16 v47, v47, v66
	ds_write_b32 v39, v47
	ds_read2_b32 v[47:48], v39 offset0:39 offset1:78
	ds_read2_b32 v[65:66], v39 offset0:117 offset1:156
	;; [unrolled: 1-line block ×8, first 2 shown]
	s_waitcnt lgkmcnt(3)
	v_lshrrev_b32_e32 v112, 16, v71
	v_lshrrev_b32_e32 v96, 16, v47
	s_waitcnt vmcnt(15)
	v_mul_f16_sdwa v97, v47, v79 dst_sel:DWORD dst_unused:UNUSED_PAD src0_sel:DWORD src1_sel:WORD_1
	v_lshrrev_b32_e32 v98, 16, v48
	s_waitcnt vmcnt(14)
	v_mul_f16_sdwa v99, v48, v80 dst_sel:DWORD dst_unused:UNUSED_PAD src0_sel:DWORD src1_sel:WORD_1
	;; [unrolled: 3-line block ×8, first 2 shown]
	s_waitcnt vmcnt(7)
	v_mul_f16_sdwa v113, v71, v87 dst_sel:DWORD dst_unused:UNUSED_PAD src0_sel:DWORD src1_sel:WORD_1
	v_lshrrev_b32_e32 v114, 16, v72
	s_waitcnt vmcnt(6)
	v_mul_f16_sdwa v115, v72, v14 dst_sel:DWORD dst_unused:UNUSED_PAD src0_sel:DWORD src1_sel:WORD_1
	s_waitcnt lgkmcnt(2)
	v_lshrrev_b32_e32 v116, 16, v73
	s_waitcnt vmcnt(5)
	v_mul_f16_sdwa v117, v73, v49 dst_sel:DWORD dst_unused:UNUSED_PAD src0_sel:DWORD src1_sel:WORD_1
	v_lshrrev_b32_e32 v118, 16, v74
	s_waitcnt vmcnt(4)
	v_mul_f16_sdwa v119, v74, v88 dst_sel:DWORD dst_unused:UNUSED_PAD src0_sel:DWORD src1_sel:WORD_1
	s_waitcnt lgkmcnt(1)
	v_lshrrev_b32_e32 v120, 16, v75
	s_waitcnt vmcnt(1)
	v_mul_f16_sdwa v121, v75, v91 dst_sel:DWORD dst_unused:UNUSED_PAD src0_sel:DWORD src1_sel:WORD_1
	v_lshrrev_b32_e32 v122, 16, v76
	v_mul_f16_sdwa v123, v76, v89 dst_sel:DWORD dst_unused:UNUSED_PAD src0_sel:DWORD src1_sel:WORD_1
	s_waitcnt lgkmcnt(0)
	v_lshrrev_b32_e32 v124, 16, v77
	v_mul_f16_sdwa v125, v77, v90 dst_sel:DWORD dst_unused:UNUSED_PAD src0_sel:DWORD src1_sel:WORD_1
	v_lshrrev_b32_e32 v126, 16, v78
	v_mul_f16_sdwa v128, v96, v79 dst_sel:DWORD dst_unused:UNUSED_PAD src0_sel:DWORD src1_sel:WORD_1
	v_fmac_f16_e32 v97, v96, v79
	v_mul_f16_sdwa v96, v98, v80 dst_sel:DWORD dst_unused:UNUSED_PAD src0_sel:DWORD src1_sel:WORD_1
	v_fmac_f16_e32 v99, v98, v80
	v_mul_f16_sdwa v98, v100, v81 dst_sel:DWORD dst_unused:UNUSED_PAD src0_sel:DWORD src1_sel:WORD_1
	v_fmac_f16_e32 v101, v100, v81
	v_mul_f16_sdwa v100, v102, v82 dst_sel:DWORD dst_unused:UNUSED_PAD src0_sel:DWORD src1_sel:WORD_1
	v_fmac_f16_e32 v103, v102, v82
	v_mul_f16_sdwa v102, v104, v83 dst_sel:DWORD dst_unused:UNUSED_PAD src0_sel:DWORD src1_sel:WORD_1
	v_fmac_f16_e32 v105, v104, v83
	v_mul_f16_sdwa v104, v106, v84 dst_sel:DWORD dst_unused:UNUSED_PAD src0_sel:DWORD src1_sel:WORD_1
	v_fmac_f16_e32 v107, v106, v84
	v_mul_f16_sdwa v106, v108, v85 dst_sel:DWORD dst_unused:UNUSED_PAD src0_sel:DWORD src1_sel:WORD_1
	v_fmac_f16_e32 v109, v108, v85
	v_mul_f16_sdwa v108, v110, v86 dst_sel:DWORD dst_unused:UNUSED_PAD src0_sel:DWORD src1_sel:WORD_1
	v_fmac_f16_e32 v111, v110, v86
	v_mul_f16_sdwa v110, v112, v87 dst_sel:DWORD dst_unused:UNUSED_PAD src0_sel:DWORD src1_sel:WORD_1
	v_fmac_f16_e32 v113, v112, v87
	v_mul_f16_sdwa v112, v114, v14 dst_sel:DWORD dst_unused:UNUSED_PAD src0_sel:DWORD src1_sel:WORD_1
	s_waitcnt vmcnt(0)
	v_mul_f16_sdwa v127, v78, v92 dst_sel:DWORD dst_unused:UNUSED_PAD src0_sel:DWORD src1_sel:WORD_1
	v_fmac_f16_e32 v115, v114, v14
	v_mul_f16_sdwa v114, v116, v49 dst_sel:DWORD dst_unused:UNUSED_PAD src0_sel:DWORD src1_sel:WORD_1
	v_fmac_f16_e32 v117, v116, v49
	;; [unrolled: 2-line block ×6, first 2 shown]
	v_mul_f16_sdwa v124, v126, v92 dst_sel:DWORD dst_unused:UNUSED_PAD src0_sel:DWORD src1_sel:WORD_1
	v_fma_f16 v47, v47, v79, -v128
	v_fma_f16 v48, v48, v80, -v96
	;; [unrolled: 1-line block ×10, first 2 shown]
	v_fmac_f16_e32 v127, v126, v92
	v_fma_f16 v49, v73, v49, -v114
	v_fma_f16 v72, v74, v88, -v116
	v_fma_f16 v73, v75, v91, -v118
	v_fma_f16 v74, v76, v89, -v120
	v_fma_f16 v75, v77, v90, -v122
	v_fma_f16 v76, v78, v92, -v124
	v_pack_b32_f16 v47, v47, v97
	v_pack_b32_f16 v48, v48, v99
	;; [unrolled: 1-line block ×16, first 2 shown]
	ds_write2_b32 v39, v47, v48 offset0:39 offset1:78
	ds_write2_b32 v39, v65, v66 offset0:117 offset1:156
	;; [unrolled: 1-line block ×8, first 2 shown]
.LBB0_13:
	s_or_b32 exec_lo, exec_lo, s2
	s_waitcnt lgkmcnt(0)
	s_barrier
	buffer_gl0_inv
	s_and_saveexec_b32 s1, vcc_lo
	s_cbranch_execz .LBB0_15
; %bb.14:
	v_add_nc_u32_e32 v13, 0x200, v39
	v_add_nc_u32_e32 v14, 0x400, v39
	ds_read2_b32 v[25:26], v39 offset1:39
	ds_read2_b32 v[31:32], v39 offset0:78 offset1:117
	ds_read2_b32 v[27:28], v39 offset0:156 offset1:195
	;; [unrolled: 1-line block ×4, first 2 shown]
	v_add_nc_u32_e32 v13, 0x800, v39
	ds_read2_b32 v[29:30], v14 offset0:134 offset1:173
	ds_read2_b32 v[37:38], v14 offset0:212 offset1:251
	;; [unrolled: 1-line block ×3, first 2 shown]
	ds_read_b32 v42, v39 offset:2496
	s_waitcnt lgkmcnt(8)
	v_lshrrev_b32_e32 v51, 16, v25
	v_lshrrev_b32_e32 v59, 16, v26
	s_waitcnt lgkmcnt(7)
	v_lshrrev_b32_e32 v55, 16, v31
	v_lshrrev_b32_e32 v58, 16, v32
	;; [unrolled: 3-line block ×8, first 2 shown]
	s_waitcnt lgkmcnt(0)
	v_lshrrev_b32_e32 v44, 16, v42
	v_mov_b32_e32 v45, v14
.LBB0_15:
	s_or_b32 exec_lo, exec_lo, s1
	v_sub_f16_e32 v83, v59, v44
	v_add_f16_e32 v90, v44, v59
	v_add_f16_e32 v65, v42, v26
	v_sub_f16_e32 v67, v26, v42
	v_add_f16_e32 v93, v43, v55
	v_mul_f16_e32 v114, 0xbb29, v83
	v_mul_f16_e32 v148, 0x3722, v90
	v_sub_f16_e32 v84, v55, v43
	v_add_f16_e32 v66, v45, v31
	v_mul_f16_e32 v176, 0xbbf7, v83
	v_fma_f16 v14, v65, 0x3722, -v114
	v_fmamk_f16 v47, v67, 0xbb29, v148
	v_mul_f16_e32 v110, 0x2de8, v90
	v_mul_f16_e32 v119, 0xba62, v84
	v_sub_f16_e32 v69, v31, v45
	v_mul_f16_e32 v155, 0xb8d2, v93
	v_add_f16_e32 v14, v25, v14
	v_add_f16_e32 v47, v51, v47
	v_fma_f16 v48, v65, 0x2de8, -v176
	v_fmamk_f16 v49, v67, 0xbbf7, v110
	v_fma_f16 v68, v66, 0xb8d2, -v119
	v_sub_f16_e32 v86, v58, v50
	v_fmamk_f16 v70, v69, 0xba62, v155
	v_mul_f16_e32 v179, 0xb1e1, v84
	v_mul_f16_e32 v157, 0xbbdd, v93
	v_add_f16_e32 v98, v50, v58
	v_add_f16_e32 v48, v25, v48
	;; [unrolled: 1-line block ×5, first 2 shown]
	v_mul_f16_e32 v146, 0x31e1, v86
	v_add_f16_e32 v47, v70, v47
	v_fma_f16 v71, v66, 0xbbdd, -v179
	v_fmamk_f16 v72, v69, 0xb1e1, v157
	v_sub_f16_e32 v70, v32, v13
	v_mul_f16_e32 v165, 0xbbdd, v98
	v_sub_f16_e32 v88, v62, v63
	v_fma_f16 v73, v68, 0xbbdd, -v146
	v_add_f16_e32 v48, v71, v48
	v_add_f16_e32 v49, v72, v49
	v_fmamk_f16 v72, v70, 0x31e1, v165
	v_mul_f16_e32 v183, 0x3bb2, v86
	v_mul_f16_e32 v173, 0xb461, v98
	v_add_f16_e32 v71, v38, v27
	v_mul_f16_e32 v156, 0x3bb2, v88
	v_add_f16_e32 v94, v63, v62
	v_add_f16_e32 v14, v73, v14
	;; [unrolled: 1-line block ×3, first 2 shown]
	v_fma_f16 v73, v68, 0xb461, -v183
	v_fmamk_f16 v74, v70, 0x3bb2, v173
	v_fma_f16 v75, v71, 0xb461, -v156
	v_sub_f16_e32 v72, v27, v38
	v_mul_f16_e32 v167, 0xb461, v94
	v_sub_f16_e32 v89, v54, v64
	v_mul_f16_e32 v186, 0x35c8, v88
	v_mul_f16_e32 v191, 0x3b76, v94
	v_add_f16_e32 v95, v64, v54
	v_add_f16_e32 v48, v73, v48
	;; [unrolled: 1-line block ×4, first 2 shown]
	v_fmamk_f16 v75, v72, 0x3bb2, v167
	v_add_f16_e32 v73, v37, v28
	v_mul_f16_e32 v163, 0x3964, v89
	v_fma_f16 v76, v71, 0x3b76, -v186
	v_fmamk_f16 v77, v72, 0x35c8, v191
	v_sub_f16_e32 v74, v28, v37
	v_mul_f16_e32 v177, 0x39e9, v95
	v_add_f16_e32 v99, v52, v57
	v_fma_f16 v78, v73, 0x39e9, -v163
	v_add_f16_e32 v47, v75, v47
	v_add_f16_e32 v48, v76, v48
	;; [unrolled: 1-line block ×3, first 2 shown]
	v_fmamk_f16 v77, v74, 0x3964, v177
	v_sub_f16_e32 v92, v57, v52
	v_mul_f16_e32 v187, 0xbb29, v89
	v_mul_f16_e32 v192, 0x3722, v95
	v_sub_f16_e32 v76, v35, v30
	v_mul_f16_e32 v181, 0x3b76, v99
	v_add_f16_e32 v14, v78, v14
	v_add_f16_e32 v75, v30, v35
	v_mul_f16_e32 v175, 0xb5c8, v92
	v_fma_f16 v78, v73, 0x3722, -v187
	v_fmamk_f16 v79, v74, 0xbb29, v192
	v_add_f16_e32 v47, v77, v47
	v_fmamk_f16 v77, v76, 0xb5c8, v181
	v_mul_f16_e32 v184, 0xb836, v92
	v_sub_f16_e32 v96, v61, v60
	v_add_f16_e32 v100, v60, v61
	v_fma_f16 v80, v75, 0x3b76, -v175
	v_add_f16_e32 v48, v78, v48
	v_add_f16_e32 v49, v79, v49
	;; [unrolled: 1-line block ×3, first 2 shown]
	v_mul_f16_e32 v194, 0xbacd, v99
	v_fma_f16 v79, v75, 0xbacd, -v184
	v_add_f16_e32 v77, v29, v36
	v_mul_f16_e32 v178, 0xbbf7, v96
	v_sub_f16_e32 v78, v36, v29
	v_mul_f16_e32 v182, 0x2de8, v100
	v_add_f16_e32 v14, v80, v14
	v_mul_f16_e32 v188, 0x3a62, v96
	v_fmamk_f16 v80, v76, 0xb836, v194
	v_fma_f16 v81, v77, 0x2de8, -v178
	v_add_f16_e32 v48, v79, v48
	v_fmamk_f16 v79, v78, 0xbbf7, v182
	v_mul_f16_e32 v193, 0xb8d2, v100
	v_sub_f16_e32 v101, v53, v56
	v_add_f16_e32 v102, v56, v53
	v_fma_f16 v82, v77, 0xb8d2, -v188
	v_add_f16_e32 v49, v80, v49
	v_add_f16_e32 v14, v81, v14
	;; [unrolled: 1-line block ×3, first 2 shown]
	v_fmamk_f16 v47, v78, 0x3a62, v193
	v_add_f16_e32 v79, v34, v33
	v_sub_f16_e32 v80, v33, v34
	v_mul_f16_e32 v180, 0xb836, v101
	v_mul_f16_e32 v185, 0xbacd, v102
	;; [unrolled: 1-line block ×4, first 2 shown]
	v_add_f16_e32 v82, v82, v48
	v_add_f16_e32 v49, v47, v49
	v_fma_f16 v47, v79, 0xbacd, -v180
	v_fmamk_f16 v48, v80, 0xb836, v185
	v_fma_f16 v85, v79, 0x39e9, -v189
	v_fmamk_f16 v87, v80, 0x3964, v190
	v_add_f16_e32 v47, v47, v14
	v_add_f16_e32 v48, v48, v81
	;; [unrolled: 1-line block ×4, first 2 shown]
	s_barrier
	buffer_gl0_inv
	s_and_saveexec_b32 s1, vcc_lo
	s_cbranch_execz .LBB0_17
; %bb.16:
	v_mul_f16_e32 v108, 0xbbdd, v90
	v_mul_f16_e32 v105, 0x3b76, v93
	;; [unrolled: 1-line block ×5, first 2 shown]
	v_fmamk_f16 v81, v67, 0x31e1, v108
	v_fmamk_f16 v82, v69, 0xb5c8, v105
	v_fmamk_f16 v85, v70, 0x3836, v103
	v_mul_f16_e32 v106, 0xb8d2, v95
	v_mul_f16_e32 v118, 0x35c8, v84
	v_add_f16_e32 v81, v51, v81
	v_fmamk_f16 v87, v65, 0xbbdd, v117
	v_mul_f16_e32 v107, 0x3722, v99
	v_mul_f16_e32 v115, 0xb836, v86
	v_fmamk_f16 v91, v66, 0x3b76, v118
	v_add_f16_e32 v81, v82, v81
	v_fmamk_f16 v82, v72, 0xb964, v104
	v_add_f16_e32 v87, v25, v87
	v_mul_f16_e32 v116, 0x3964, v88
	v_fmamk_f16 v97, v68, 0xbacd, v115
	v_add_f16_e32 v81, v85, v81
	v_fmamk_f16 v85, v74, 0x3a62, v106
	v_add_f16_e32 v87, v91, v87
	v_mul_f16_e32 v138, 0xbacd, v90
	v_mul_f16_e32 v109, 0xb461, v100
	v_add_f16_e32 v81, v82, v81
	v_fmamk_f16 v82, v76, 0xbb29, v107
	v_add_f16_e32 v87, v97, v87
	v_mul_f16_e32 v129, 0xba62, v89
	v_fmamk_f16 v91, v67, 0x3836, v138
	v_add_f16_e32 v81, v85, v81
	v_mul_f16_e32 v142, 0x3722, v93
	v_fmamk_f16 v85, v78, 0x3bb2, v109
	v_mul_f16_e32 v111, 0x2de8, v102
	v_mul_f16_e32 v130, 0x3b29, v92
	v_add_f16_e32 v81, v82, v81
	v_fmamk_f16 v82, v71, 0x39e9, v116
	v_add_f16_e32 v91, v51, v91
	v_fmamk_f16 v97, v69, 0xbb29, v142
	v_mul_f16_e32 v143, 0x2de8, v98
	v_add_f16_e32 v81, v85, v81
	v_add_f16_e32 v82, v82, v87
	v_fmamk_f16 v87, v73, 0xb8d2, v129
	v_fmamk_f16 v85, v80, 0xbbf7, v111
	v_mul_f16_e32 v131, 0xbbb2, v96
	v_add_f16_e32 v91, v97, v91
	v_fmamk_f16 v97, v70, 0x3bf7, v143
	v_add_f16_e32 v82, v87, v82
	v_fmamk_f16 v87, v75, 0x3722, v130
	v_mul_f16_e32 v144, 0xb8d2, v94
	v_add_f16_e32 v81, v85, v81
	v_add_f16_e32 v85, v97, v91
	v_mul_f16_e32 v145, 0x3b76, v95
	v_add_f16_e32 v82, v87, v82
	v_fmamk_f16 v87, v77, 0xb461, v131
	v_fmamk_f16 v91, v72, 0xba62, v144
	v_mul_f16_e32 v140, 0xb836, v83
	v_mul_f16_e32 v134, 0x3bf7, v101
	v_mul_f16_e32 v151, 0xbbdd, v99
	v_add_f16_e32 v82, v87, v82
	v_add_f16_e32 v85, v91, v85
	v_fmamk_f16 v87, v74, 0x35c8, v145
	v_fmamk_f16 v97, v65, 0xbacd, v140
	v_mul_f16_e32 v123, 0x3b29, v84
	v_fmamk_f16 v91, v79, 0x2de8, v134
	v_mul_f16_e32 v132, 0x39e9, v100
	v_add_f16_e32 v85, v87, v85
	v_fmamk_f16 v87, v76, 0x31e1, v151
	v_add_f16_e32 v97, v25, v97
	v_fmamk_f16 v113, v66, 0x3722, v123
	v_mul_f16_e32 v112, 0xbbf7, v86
	v_add_f16_e32 v82, v91, v82
	v_add_f16_e32 v85, v87, v85
	v_fmamk_f16 v87, v78, 0xb964, v132
	v_add_f16_e32 v91, v113, v97
	v_fmamk_f16 v97, v68, 0x2de8, v112
	v_mul_f16_e32 v113, 0x3a62, v88
	v_mul_f16_e32 v154, 0xb8d2, v90
	v_add_f16_e32 v85, v87, v85
	v_mul_f16_e32 v120, 0xb5c8, v89
	v_add_f16_e32 v87, v97, v91
	v_fmamk_f16 v91, v71, 0xb8d2, v113
	v_fmamk_f16 v122, v67, 0x3a62, v154
	v_mul_f16_e32 v133, 0xb461, v93
	v_mul_f16_e32 v135, 0xb461, v102
	;; [unrolled: 1-line block ×3, first 2 shown]
	v_add_f16_e32 v87, v91, v87
	v_fmamk_f16 v91, v73, 0x3b76, v120
	v_add_f16_e32 v124, v51, v122
	v_fmamk_f16 v125, v69, 0xbbb2, v133
	v_mul_f16_e32 v136, 0x3b76, v98
	v_fmamk_f16 v97, v80, 0x3bb2, v135
	v_add_f16_e32 v87, v91, v87
	v_fmamk_f16 v91, v75, 0xbbdd, v121
	v_mul_f16_e32 v122, 0x3964, v96
	v_add_f16_e32 v124, v125, v124
	v_fmamk_f16 v125, v70, 0x35c8, v136
	v_mul_f16_e32 v137, 0xbacd, v94
	v_add_f16_e32 v87, v91, v87
	v_fmamk_f16 v91, v77, 0x39e9, v122
	v_add_f16_e32 v85, v97, v85
	v_add_f16_e32 v97, v125, v124
	v_fmamk_f16 v125, v72, 0x3836, v137
	v_mul_f16_e32 v139, 0x2de8, v95
	v_mul_f16_e32 v158, 0xba62, v83
	v_add_f16_e32 v87, v91, v87
	v_mul_f16_e32 v124, 0xbbb2, v101
	v_add_f16_e32 v91, v125, v97
	v_fmamk_f16 v97, v74, 0xbbf7, v139
	v_mul_f16_e32 v150, 0x39e9, v99
	v_fmamk_f16 v126, v65, 0xb8d2, v158
	v_mul_f16_e32 v159, 0x3bb2, v84
	v_fmamk_f16 v125, v79, 0xb461, v124
	v_add_f16_e32 v91, v97, v91
	v_fmamk_f16 v97, v76, 0x3964, v150
	v_mul_f16_e32 v152, 0xbbdd, v100
	v_add_f16_e32 v126, v25, v126
	v_fmamk_f16 v127, v66, 0xb461, v159
	v_mul_f16_e32 v162, 0xb5c8, v86
	v_add_f16_e32 v91, v97, v91
	v_fmamk_f16 v97, v78, 0x31e1, v152
	v_add_f16_e32 v87, v125, v87
	v_add_f16_e32 v125, v127, v126
	v_fmamk_f16 v126, v68, 0x3b76, v162
	v_mul_f16_e32 v164, 0xb836, v88
	v_mul_f16_e32 v147, 0xb461, v90
	v_add_f16_e32 v91, v97, v91
	v_mul_f16_e32 v170, 0x3bf7, v89
	v_add_f16_e32 v97, v126, v125
	v_fmamk_f16 v126, v71, 0xbacd, v164
	v_fmamk_f16 v127, v67, 0x3bb2, v147
	v_mul_f16_e32 v125, 0xbacd, v93
	v_mul_f16_e32 v153, 0x3722, v102
	v_fmamk_f16 v141, v73, 0x2de8, v170
	v_add_f16_e32 v97, v126, v97
	v_mul_f16_e32 v172, 0xb964, v92
	v_add_f16_e32 v127, v51, v127
	v_fmamk_f16 v149, v69, 0xb836, v125
	v_mul_f16_e32 v126, 0x39e9, v98
	v_fmamk_f16 v128, v80, 0xbb29, v153
	v_add_f16_e32 v97, v141, v97
	v_fmamk_f16 v141, v75, 0x39e9, v172
	v_mul_f16_e32 v174, 0xb1e1, v96
	v_add_f16_e32 v149, v149, v127
	v_fmamk_f16 v160, v70, 0xb964, v126
	v_mul_f16_e32 v127, 0x3722, v94
	v_add_f16_e32 v97, v141, v97
	v_fmamk_f16 v141, v77, 0xbbdd, v174
	v_add_f16_e32 v91, v128, v91
	v_add_f16_e32 v149, v160, v149
	v_fmamk_f16 v160, v72, 0x3b29, v127
	v_mul_f16_e32 v128, 0xbbdd, v95
	v_mul_f16_e32 v168, 0xbbb2, v83
	v_add_f16_e32 v97, v141, v97
	v_mul_f16_e32 v166, 0x3b29, v101
	v_add_f16_e32 v149, v160, v149
	v_fmamk_f16 v160, v74, 0x31e1, v128
	v_mul_f16_e32 v141, 0x2de8, v99
	v_fmamk_f16 v161, v65, 0xb461, v168
	v_mul_f16_e32 v169, 0x3836, v84
	v_mul_f16_e32 v171, 0xbbf7, v67
	v_fmamk_f16 v201, v79, 0x3722, v166
	v_add_f16_e32 v149, v160, v149
	v_fmamk_f16 v202, v76, 0xbbf7, v141
	v_add_f16_e32 v161, v25, v161
	v_fmamk_f16 v203, v66, 0xbacd, v169
	v_mul_f16_e32 v160, 0x3964, v86
	v_mul_f16_e32 v200, 0xb1e1, v69
	v_add_f16_e32 v97, v201, v97
	v_add_f16_e32 v201, v202, v149
	;; [unrolled: 1-line block ×3, first 2 shown]
	v_fmamk_f16 v203, v68, 0x39e9, v160
	v_mul_f16_e32 v161, 0xbb29, v88
	v_sub_f16_e32 v110, v110, v171
	v_mul_f16_e32 v149, 0x3b76, v100
	v_mul_f16_e32 v204, 0x3bb2, v70
	v_add_f16_e32 v202, v203, v202
	v_fmamk_f16 v203, v71, 0x3722, v161
	v_sub_f16_e32 v200, v157, v200
	v_mul_f16_e32 v171, 0xb1e1, v89
	v_add_f16_e32 v110, v51, v110
	v_fmamk_f16 v205, v78, 0x35c8, v149
	v_add_f16_e32 v202, v203, v202
	v_mul_f16_e32 v197, 0x2de8, v65
	v_fmamk_f16 v203, v73, 0xbbdd, v171
	v_add_f16_e32 v110, v200, v110
	v_sub_f16_e32 v200, v173, v204
	v_mul_f16_e32 v173, 0x3bf7, v92
	v_add_f16_e32 v201, v205, v201
	v_mul_f16_e32 v157, 0xb8d2, v102
	v_mul_f16_e32 v204, 0x35c8, v72
	v_add_f16_e32 v202, v203, v202
	v_fmamk_f16 v205, v75, 0x2de8, v173
	v_mul_f16_e32 v196, 0xbb29, v67
	v_fmamk_f16 v203, v80, 0x3a62, v157
	v_sub_f16_e32 v191, v191, v204
	v_mul_f16_e32 v204, 0xbbdd, v66
	v_add_f16_e32 v202, v205, v202
	v_add_f16_e32 v197, v197, v176
	v_mul_f16_e32 v205, 0xb461, v68
	v_mul_f16_e32 v199, 0xba62, v69
	v_add_f16_e32 v200, v200, v110
	v_add_f16_e32 v110, v203, v201
	v_mul_f16_e32 v203, 0xbb29, v74
	v_add_f16_e32 v179, v204, v179
	v_add_f16_e32 v197, v25, v197
	;; [unrolled: 1-line block ×3, first 2 shown]
	v_mul_f16_e32 v205, 0x3a62, v78
	v_sub_f16_e32 v148, v148, v196
	v_add_f16_e32 v191, v191, v200
	v_mul_f16_e32 v200, 0x31e1, v70
	v_sub_f16_e32 v192, v192, v203
	v_mul_f16_e32 v203, 0xb836, v76
	v_add_f16_e32 v179, v179, v197
	v_mul_f16_e32 v204, 0x3b76, v71
	v_sub_f16_e32 v193, v193, v205
	v_sub_f16_e32 v155, v155, v199
	v_add_f16_e32 v205, v51, v148
	v_mul_f16_e32 v195, 0x3722, v65
	v_add_f16_e32 v191, v192, v191
	v_sub_f16_e32 v194, v194, v203
	v_mul_f16_e32 v197, 0x3bb2, v72
	v_add_f16_e32 v183, v183, v179
	v_add_f16_e32 v186, v204, v186
	v_mul_f16_e32 v196, 0x3722, v73
	v_add_f16_e32 v155, v155, v205
	v_sub_f16_e32 v165, v165, v200
	v_mul_f16_e32 v198, 0xb8d2, v66
	v_mul_f16_e32 v176, 0xb5c8, v96
	v_add_f16_e32 v191, v194, v191
	v_mul_f16_e32 v194, 0x3964, v74
	v_add_f16_e32 v183, v186, v183
	v_add_f16_e32 v187, v196, v187
	v_mul_f16_e32 v196, 0xbacd, v75
	v_add_f16_e32 v114, v195, v114
	v_add_f16_e32 v155, v165, v155
	v_sub_f16_e32 v165, v167, v197
	v_mul_f16_e32 v201, 0xbbdd, v68
	v_fmamk_f16 v203, v77, 0x3b76, v176
	v_mul_f16_e32 v179, 0xba62, v101
	v_mul_f16_e32 v199, 0xb5c8, v76
	;; [unrolled: 1-line block ×3, first 2 shown]
	v_add_f16_e32 v183, v187, v183
	v_mul_f16_e32 v195, 0x3964, v80
	v_add_f16_e32 v184, v196, v184
	v_add_f16_e32 v114, v25, v114
	;; [unrolled: 1-line block ×4, first 2 shown]
	v_sub_f16_e32 v165, v177, v194
	v_mul_f16_e32 v192, 0xb461, v71
	v_add_f16_e32 v202, v203, v202
	v_fmamk_f16 v186, v79, 0xb8d2, v179
	v_add_f16_e32 v191, v193, v191
	v_mul_f16_e32 v196, 0x39e9, v79
	v_sub_f16_e32 v167, v190, v195
	v_add_f16_e32 v183, v184, v183
	v_add_f16_e32 v177, v200, v188
	;; [unrolled: 1-line block ×5, first 2 shown]
	v_sub_f16_e32 v165, v181, v199
	v_mul_f16_e32 v203, 0x39e9, v73
	v_add_f16_e32 v148, v186, v202
	v_mul_f16_e32 v202, 0xbbf7, v78
	v_add_f16_e32 v114, v167, v191
	v_add_f16_e32 v167, v177, v183
	;; [unrolled: 1-line block ×6, first 2 shown]
	v_mul_f16_e32 v165, 0x39e9, v90
	v_mul_f16_e32 v204, 0x3b76, v75
	v_sub_f16_e32 v177, v182, v202
	v_add_f16_e32 v146, v146, v119
	v_add_f16_e32 v163, v203, v163
	v_add_f16_e32 v119, v156, v167
	v_fmamk_f16 v156, v67, 0x3964, v165
	v_mul_f16_e32 v167, 0x2de8, v93
	v_mul_f16_e32 v186, 0x2de8, v77
	;; [unrolled: 1-line block ×3, first 2 shown]
	v_add_f16_e32 v155, v177, v155
	v_add_f16_e32 v146, v163, v146
	v_add_f16_e32 v163, v204, v175
	v_add_f16_e32 v156, v51, v156
	v_fmamk_f16 v175, v69, 0x3bf7, v167
	v_mul_f16_e32 v177, 0xb8d2, v98
	v_sub_f16_e32 v181, v185, v187
	v_add_f16_e32 v163, v163, v146
	v_add_f16_e32 v178, v186, v178
	;; [unrolled: 1-line block ×3, first 2 shown]
	v_fmamk_f16 v175, v70, 0x3a62, v177
	v_mul_f16_e32 v182, 0xbbdd, v94
	v_add_f16_e32 v146, v181, v155
	v_add_f16_e32 v155, v178, v163
	v_mul_f16_e32 v178, 0xbacd, v95
	v_add_f16_e32 v156, v175, v156
	v_fmamk_f16 v175, v72, 0x31e1, v182
	v_mul_f16_e32 v184, 0xb461, v99
	v_add_f16_e32 v26, v26, v25
	v_mul_f16_e32 v187, 0x3722, v100
	v_mul_f16_e32 v90, 0x3b76, v90
	v_add_f16_e32 v156, v175, v156
	v_fmamk_f16 v175, v74, 0xb836, v178
	v_add_f16_e32 v26, v31, v26
	v_add_f16_e32 v31, v59, v51
	v_mul_f16_e32 v193, 0xbacd, v79
	v_fmamk_f16 v191, v67, 0x35c8, v90
	v_add_f16_e32 v156, v175, v156
	v_fmamk_f16 v175, v76, 0xbbb2, v184
	v_add_f16_e32 v26, v32, v26
	v_add_f16_e32 v31, v55, v31
	v_mul_f16_e32 v93, 0x39e9, v93
	v_add_f16_e32 v180, v193, v180
	v_add_f16_e32 v156, v175, v156
	v_fmamk_f16 v175, v78, 0xbb29, v187
	v_add_f16_e32 v26, v27, v26
	v_add_f16_e32 v27, v58, v31
	;; [unrolled: 1-line block ×3, first 2 shown]
	v_fmamk_f16 v193, v69, 0x3964, v93
	v_add_f16_e32 v175, v175, v156
	v_mul_f16_e32 v156, 0x3b76, v102
	v_mul_f16_e32 v98, 0x3722, v98
	v_add_f16_e32 v26, v28, v26
	v_add_f16_e32 v27, v62, v27
	v_mul_f16_e32 v94, 0x2de8, v94
	v_fmamk_f16 v190, v80, 0xb5c8, v156
	v_mul_f16_e32 v31, 0xb5c8, v83
	v_add_f16_e32 v26, v35, v26
	v_add_f16_e32 v27, v54, v27
	v_fmamk_f16 v59, v72, 0x3bf7, v94
	v_add_f16_e32 v175, v190, v175
	v_add_f16_e32 v190, v193, v191
	v_fmamk_f16 v191, v70, 0x3b29, v98
	v_mul_f16_e32 v95, 0xb461, v95
	v_fmamk_f16 v28, v65, 0x3b76, v31
	v_mul_f16_e32 v58, 0xb964, v84
	v_add_f16_e32 v26, v36, v26
	v_add_f16_e32 v190, v191, v190
	;; [unrolled: 1-line block ×3, first 2 shown]
	v_fmamk_f16 v55, v74, 0x3bb2, v95
	v_add_f16_e32 v28, v25, v28
	v_fmamk_f16 v35, v66, 0x39e9, v58
	v_add_f16_e32 v32, v59, v190
	v_mul_f16_e32 v54, 0xbb29, v86
	v_add_f16_e32 v26, v33, v26
	v_add_f16_e32 v27, v61, v27
	;; [unrolled: 1-line block ×4, first 2 shown]
	v_mul_f16_e32 v55, 0xb8d2, v99
	v_fmamk_f16 v35, v68, 0x3722, v54
	v_mul_f16_e32 v33, 0xbbf7, v88
	v_add_f16_e32 v26, v34, v26
	v_add_f16_e32 v27, v53, v27
	v_fmamk_f16 v62, v76, 0x3a62, v55
	v_mul_f16_e32 v36, 0xbacd, v100
	v_add_f16_e32 v28, v35, v28
	v_fmamk_f16 v34, v71, 0x2de8, v33
	v_mul_f16_e32 v35, 0xbbb2, v89
	v_add_f16_e32 v26, v29, v26
	v_add_f16_e32 v27, v56, v27
	;; [unrolled: 1-line block ×3, first 2 shown]
	v_fmamk_f16 v53, v78, 0x3836, v36
	v_add_f16_e32 v28, v34, v28
	v_fmamk_f16 v29, v73, 0xb461, v35
	v_mul_f16_e32 v34, 0xba62, v92
	v_add_f16_e32 v26, v30, v26
	v_add_f16_e32 v27, v60, v27
	;; [unrolled: 1-line block ×4, first 2 shown]
	v_fmamk_f16 v29, v75, 0xb8d2, v34
	v_add_f16_e32 v26, v37, v26
	v_add_f16_e32 v27, v52, v27
	v_mul_f16_e32 v32, 0xb836, v96
	v_fmac_f16_e32 v138, 0xb836, v67
	v_add_f16_e32 v28, v29, v28
	v_add_f16_e32 v26, v38, v26
	;; [unrolled: 1-line block ×3, first 2 shown]
	v_fmamk_f16 v29, v77, 0xbacd, v32
	v_mul_f16_e32 v38, 0xb1e1, v101
	v_fmac_f16_e32 v142, 0x3b29, v69
	v_add_f16_e32 v13, v13, v26
	v_add_f16_e32 v26, v63, v27
	;; [unrolled: 1-line block ×3, first 2 shown]
	v_fmamk_f16 v28, v79, 0xbbdd, v38
	v_fmac_f16_e32 v143, 0xbbf7, v70
	v_add_f16_e32 v13, v45, v13
	v_add_f16_e32 v26, v50, v26
	v_fmac_f16_e32 v144, 0x3a62, v72
	v_add_f16_e32 v27, v28, v27
	v_fma_f16 v28, v65, 0xbbdd, -v117
	v_add_f16_e32 v13, v42, v13
	v_fma_f16 v42, v66, 0x3b76, -v118
	v_add_f16_e32 v26, v43, v26
	v_add_f16_e32 v43, v51, v138
	;; [unrolled: 1-line block ×3, first 2 shown]
	v_fmac_f16_e32 v145, 0xb5c8, v74
	v_fmac_f16_e32 v151, 0xb1e1, v76
	v_add_f16_e32 v26, v44, v26
	v_add_f16_e32 v43, v142, v43
	v_add_f16_e32 v28, v42, v28
	v_fma_f16 v42, v68, 0xbacd, -v115
	v_fmac_f16_e32 v132, 0x3964, v78
	v_fma_f16 v44, v65, 0xbacd, -v140
	v_add_f16_e32 v43, v143, v43
	v_fmac_f16_e32 v154, 0xba62, v67
	v_add_f16_e32 v28, v42, v28
	v_fma_f16 v42, v71, 0x39e9, -v116
	v_mul_f16_e32 v37, 0xbbdd, v102
	v_add_f16_e32 v43, v144, v43
	v_add_f16_e32 v45, v51, v154
	v_fmac_f16_e32 v133, 0x3bb2, v69
	v_add_f16_e32 v28, v42, v28
	v_fma_f16 v42, v73, 0xb8d2, -v129
	v_add_f16_e32 v43, v145, v43
	v_fmamk_f16 v52, v80, 0x31e1, v37
	v_fma_f16 v50, v65, 0xb8d2, -v158
	v_add_f16_e32 v45, v133, v45
	v_add_f16_e32 v28, v42, v28
	v_fma_f16 v42, v75, 0x3722, -v130
	v_add_f16_e32 v43, v151, v43
	v_fmac_f16_e32 v136, 0xb5c8, v70
	v_add_f16_e32 v29, v52, v30
	v_add_f16_e32 v50, v25, v50
	;; [unrolled: 1-line block ×3, first 2 shown]
	v_fma_f16 v42, v77, 0xb461, -v131
	v_fma_f16 v52, v66, 0xb461, -v159
	v_add_f16_e32 v45, v136, v45
	v_fmac_f16_e32 v137, 0xb836, v72
	v_fmac_f16_e32 v139, 0x3bf7, v74
	v_add_f16_e32 v28, v42, v28
	v_fma_f16 v42, v79, 0x2de8, -v134
	v_add_f16_e32 v50, v52, v50
	v_fma_f16 v52, v68, 0x3b76, -v162
	v_add_f16_e32 v45, v137, v45
	v_fmac_f16_e32 v150, 0xb964, v76
	v_add_f16_e32 v28, v42, v28
	v_add_f16_e32 v42, v132, v43
	;; [unrolled: 1-line block ×3, first 2 shown]
	v_fma_f16 v44, v66, 0x3722, -v123
	v_add_f16_e32 v50, v52, v50
	v_fma_f16 v52, v71, 0xbacd, -v164
	v_add_f16_e32 v45, v139, v45
	v_fmac_f16_e32 v152, 0xb1e1, v78
	v_add_f16_e32 v43, v44, v43
	v_fma_f16 v44, v68, 0x2de8, -v112
	v_add_f16_e32 v50, v52, v50
	v_fma_f16 v52, v73, 0x2de8, -v170
	v_add_f16_e32 v45, v150, v45
	v_fmac_f16_e32 v153, 0x3b29, v80
	v_add_f16_e32 v43, v44, v43
	v_fma_f16 v44, v71, 0xb8d2, -v113
	v_add_f16_e32 v50, v52, v50
	v_fma_f16 v52, v75, 0x39e9, -v172
	v_add_f16_e32 v45, v152, v45
	v_fmac_f16_e32 v147, 0xbbb2, v67
	v_add_f16_e32 v43, v44, v43
	v_fma_f16 v44, v73, 0x3b76, -v120
	v_add_f16_e32 v50, v52, v50
	v_fma_f16 v52, v77, 0xbbdd, -v174
	v_add_f16_e32 v53, v51, v147
	v_fmac_f16_e32 v125, 0x3836, v69
	v_add_f16_e32 v43, v44, v43
	v_fma_f16 v44, v75, 0xbbdd, -v121
	v_add_f16_e32 v50, v52, v50
	v_fma_f16 v52, v79, 0x3722, -v166
	v_fma_f16 v56, v66, 0xbacd, -v169
	v_fmac_f16_e32 v165, 0xb964, v67
	v_add_f16_e32 v43, v44, v43
	v_fma_f16 v44, v77, 0x39e9, -v122
	v_add_f16_e32 v50, v52, v50
	v_add_f16_e32 v52, v125, v53
	v_fma_f16 v53, v68, 0x39e9, -v160
	v_fmac_f16_e32 v167, 0xbbf7, v69
	v_add_f16_e32 v43, v44, v43
	v_fma_f16 v44, v79, 0xb461, -v124
	v_fmac_f16_e32 v177, 0xba62, v70
	v_fmac_f16_e32 v182, 0xb1e1, v72
	v_mul_f16_e32 v163, 0xb964, v83
	v_fmac_f16_e32 v178, 0x3836, v74
	v_add_f16_e32 v43, v44, v43
	v_add_f16_e32 v44, v153, v45
	v_fma_f16 v45, v65, 0xb461, -v168
	v_fmamk_f16 v181, v65, 0x39e9, v163
	v_mul_f16_e32 v183, 0xbbf7, v84
	v_fmac_f16_e32 v184, 0x3bb2, v76
	v_mul_f16_e32 v186, 0xba62, v86
	v_add_f16_e32 v45, v25, v45
	v_add_f16_e32 v181, v25, v181
	v_fmamk_f16 v185, v66, 0x2de8, v183
	v_fmac_f16_e32 v108, 0xb1e1, v67
	v_fmac_f16_e32 v187, 0x3b29, v78
	v_add_f16_e32 v45, v56, v45
	v_add_f16_e32 v56, v51, v165
	v_fma_f16 v57, v65, 0x39e9, -v163
	v_fmac_f16_e32 v90, 0xb5c8, v67
	v_add_f16_e32 v181, v185, v181
	v_add_f16_e32 v45, v53, v45
	v_fma_f16 v53, v71, 0x3722, -v161
	v_add_f16_e32 v56, v167, v56
	v_fmamk_f16 v185, v68, 0xb8d2, v186
	v_mul_f16_e32 v188, 0xb1e1, v88
	v_fma_f16 v31, v65, 0x3b76, -v31
	v_add_f16_e32 v45, v53, v45
	v_fma_f16 v53, v73, 0xbbdd, -v171
	v_add_f16_e32 v56, v177, v56
	v_add_f16_e32 v30, v51, v108
	v_fmac_f16_e32 v105, 0x35c8, v69
	v_add_f16_e32 v51, v51, v90
	v_add_f16_e32 v45, v53, v45
	v_fma_f16 v53, v75, 0x2de8, -v173
	v_add_f16_e32 v56, v182, v56
	v_fmac_f16_e32 v93, 0xb964, v69
	v_add_f16_e32 v155, v180, v155
	v_add_f16_e32 v180, v185, v181
	;; [unrolled: 1-line block ×3, first 2 shown]
	v_fma_f16 v53, v77, 0x3b76, -v176
	v_add_f16_e32 v56, v178, v56
	v_fmamk_f16 v181, v71, 0xbbdd, v188
	v_mul_f16_e32 v185, 0x3836, v89
	v_add_f16_e32 v30, v105, v30
	v_add_f16_e32 v45, v53, v45
	v_fma_f16 v53, v79, 0xb8d2, -v179
	v_add_f16_e32 v56, v184, v56
	v_fmac_f16_e32 v103, 0xb836, v70
	v_add_f16_e32 v51, v93, v51
	v_fmac_f16_e32 v98, 0xbb29, v70
	v_add_f16_e32 v45, v53, v45
	v_add_f16_e32 v53, v187, v56
	;; [unrolled: 1-line block ×3, first 2 shown]
	v_fma_f16 v57, v66, 0x2de8, -v183
	v_add_f16_e32 v25, v25, v31
	v_fma_f16 v31, v66, 0x39e9, -v58
	v_add_f16_e32 v180, v181, v180
	v_fmamk_f16 v181, v73, 0xbacd, v185
	v_add_f16_e32 v56, v57, v56
	v_fma_f16 v57, v68, 0xb8d2, -v186
	v_mul_f16_e32 v189, 0x3bb2, v92
	v_fmac_f16_e32 v126, 0x3964, v70
	v_add_f16_e32 v25, v31, v25
	v_fma_f16 v31, v68, 0x3722, -v54
	v_add_f16_e32 v30, v103, v30
	v_fmac_f16_e32 v104, 0x3964, v72
	v_add_f16_e32 v56, v57, v56
	v_fma_f16 v57, v71, 0xbbdd, -v188
	v_add_f16_e32 v51, v98, v51
	v_fmac_f16_e32 v94, 0xbbf7, v72
	v_add_f16_e32 v180, v181, v180
	v_fmamk_f16 v181, v75, 0xb461, v189
	v_mul_f16_e32 v192, 0x3b29, v96
	v_add_f16_e32 v52, v126, v52
	v_fmac_f16_e32 v127, 0xbb29, v72
	v_add_f16_e32 v25, v31, v25
	v_fma_f16 v31, v71, 0x2de8, -v33
	v_add_f16_e32 v30, v104, v30
	v_fmac_f16_e32 v106, 0xba62, v74
	v_add_f16_e32 v54, v57, v56
	v_fma_f16 v56, v73, 0xbacd, -v185
	v_add_f16_e32 v51, v94, v51
	v_fmac_f16_e32 v95, 0xbbb2, v74
	v_add_f16_e32 v180, v181, v180
	v_fmamk_f16 v181, v77, 0x3722, v192
	v_add_f16_e32 v52, v127, v52
	v_fmac_f16_e32 v128, 0xb1e1, v74
	v_add_f16_e32 v25, v31, v25
	v_fma_f16 v31, v73, 0xb461, -v35
	v_add_f16_e32 v30, v106, v30
	v_fmac_f16_e32 v107, 0x3b29, v76
	v_add_f16_e32 v33, v56, v54
	v_fma_f16 v54, v75, 0xb461, -v189
	v_add_f16_e32 v51, v95, v51
	v_fmac_f16_e32 v55, 0xba62, v76
	v_add_f16_e32 v180, v181, v180
	v_mul_f16_e32 v181, 0x35c8, v101
	v_add_f16_e32 v52, v128, v52
	v_fmac_f16_e32 v141, 0x3bf7, v76
	v_add_f16_e32 v25, v31, v25
	v_fma_f16 v31, v75, 0xb8d2, -v34
	v_add_f16_e32 v30, v107, v30
	v_fmac_f16_e32 v109, 0xbbb2, v78
	v_add_f16_e32 v33, v54, v33
	v_fma_f16 v35, v77, 0x3722, -v192
	v_add_f16_e32 v51, v55, v51
	v_fmac_f16_e32 v36, 0xb836, v78
	v_fmamk_f16 v191, v79, 0x3b76, v181
	v_add_f16_e32 v52, v141, v52
	v_fmac_f16_e32 v149, 0xb5c8, v78
	v_add_f16_e32 v25, v31, v25
	v_fma_f16 v31, v77, 0xbacd, -v32
	v_add_f16_e32 v30, v109, v30
	v_fmac_f16_e32 v111, 0x3bf7, v80
	v_add_f16_e32 v33, v35, v33
	v_fma_f16 v34, v79, 0x3b76, -v181
	v_add_f16_e32 v35, v36, v51
	v_fmac_f16_e32 v37, 0xb1e1, v80
	v_mov_b32_e32 v36, 2
	v_add_f16_e32 v59, v191, v180
	v_fmac_f16_e32 v135, 0xbbb2, v80
	v_add_f16_e32 v52, v149, v52
	v_fmac_f16_e32 v157, 0xba62, v80
	v_fmac_f16_e32 v156, 0x35c8, v80
	v_add_f16_e32 v25, v31, v25
	v_fma_f16 v31, v79, 0xbbdd, -v38
	v_add_f16_e32 v30, v111, v30
	v_add_f16_e32 v33, v34, v33
	;; [unrolled: 1-line block ×3, first 2 shown]
	v_lshlrev_b32_sdwa v35, v36, v41 dst_sel:DWORD dst_unused:UNUSED_PAD src0_sel:DWORD src1_sel:WORD_0
	v_pack_b32_f16 v27, v27, v29
	v_pack_b32_f16 v13, v13, v26
	v_add_f16_e32 v42, v135, v42
	v_pack_b32_f16 v26, v155, v146
	v_pack_b32_f16 v29, v59, v175
	v_add_f16_e32 v52, v157, v52
	;; [unrolled: 3-line block ×4, first 2 shown]
	ds_write2_b32 v35, v13, v27 offset1:1
	ds_write2_b32 v35, v29, v26 offset0:2 offset1:3
	ds_write2_b32 v35, v36, v37 offset0:4 offset1:5
	;; [unrolled: 1-line block ×3, first 2 shown]
	v_pack_b32_f16 v13, v28, v30
	v_pack_b32_f16 v26, v82, v81
	v_pack_b32_f16 v27, v50, v44
	v_pack_b32_f16 v28, v43, v42
	v_pack_b32_f16 v29, v45, v52
	v_perm_b32 v30, v49, v14, 0x5040100
	v_pack_b32_f16 v31, v33, v32
	v_perm_b32 v32, v48, v47, 0x5040100
	v_pack_b32_f16 v25, v25, v34
	ds_write2_b32 v35, v26, v13 offset0:8 offset1:9
	ds_write2_b32 v35, v28, v27 offset0:10 offset1:11
	;; [unrolled: 1-line block ×4, first 2 shown]
	ds_write_b32 v35, v25 offset:64
.LBB0_17:
	s_or_b32 exec_lo, exec_lo, s1
	s_waitcnt lgkmcnt(0)
	s_barrier
	buffer_gl0_inv
	ds_read2_b32 v[26:27], v39 offset1:51
	ds_read2_b32 v[28:29], v39 offset0:102 offset1:153
	ds_read2_b32 v[30:31], v39 offset0:204 offset1:255
	v_add_nc_u32_e32 v25, 0x400, v39
	v_add_nc_u32_e32 v36, 0x600, v39
	ds_read_b32 v13, v39 offset:2448
	ds_read2_b32 v[32:33], v25 offset0:50 offset1:101
	ds_read2_b32 v[34:35], v25 offset0:152 offset1:203
	;; [unrolled: 1-line block ×3, first 2 shown]
	s_waitcnt lgkmcnt(0)
	s_barrier
	buffer_gl0_inv
	v_lshrrev_b32_e32 v38, 16, v27
	v_lshrrev_b32_e32 v41, 16, v28
	;; [unrolled: 1-line block ×3, first 2 shown]
	v_mul_f16_sdwa v50, v8, v27 dst_sel:DWORD dst_unused:UNUSED_PAD src0_sel:WORD_1 src1_sel:DWORD
	v_lshrrev_b32_e32 v43, 16, v30
	v_lshrrev_b32_e32 v44, 16, v31
	v_mul_f16_sdwa v51, v9, v28 dst_sel:DWORD dst_unused:UNUSED_PAD src0_sel:WORD_1 src1_sel:DWORD
	v_mul_f16_sdwa v57, v8, v38 dst_sel:DWORD dst_unused:UNUSED_PAD src0_sel:WORD_1 src1_sel:DWORD
	;; [unrolled: 1-line block ×3, first 2 shown]
	v_fma_f16 v38, v8, v38, -v50
	v_mul_f16_sdwa v50, v10, v42 dst_sel:DWORD dst_unused:UNUSED_PAD src0_sel:WORD_1 src1_sel:DWORD
	v_lshrrev_b32_e32 v52, 16, v32
	v_fmac_f16_e32 v57, v8, v27
	v_fmac_f16_e32 v58, v9, v28
	v_fma_f16 v27, v9, v41, -v51
	v_mul_f16_sdwa v8, v10, v29 dst_sel:DWORD dst_unused:UNUSED_PAD src0_sel:WORD_1 src1_sel:DWORD
	v_fmac_f16_e32 v50, v10, v29
	v_mul_f16_sdwa v28, v11, v43 dst_sel:DWORD dst_unused:UNUSED_PAD src0_sel:WORD_1 src1_sel:DWORD
	v_mul_f16_sdwa v29, v11, v30 dst_sel:DWORD dst_unused:UNUSED_PAD src0_sel:WORD_1 src1_sel:DWORD
	;; [unrolled: 1-line block ×3, first 2 shown]
	v_fma_f16 v41, v10, v42, -v8
	v_mul_f16_sdwa v10, v4, v31 dst_sel:DWORD dst_unused:UNUSED_PAD src0_sel:WORD_1 src1_sel:DWORD
	v_fmac_f16_e32 v28, v11, v30
	v_fma_f16 v11, v11, v43, -v29
	v_fmac_f16_e32 v9, v4, v31
	v_mul_f16_sdwa v8, v5, v52 dst_sel:DWORD dst_unused:UNUSED_PAD src0_sel:WORD_1 src1_sel:DWORD
	v_mul_f16_sdwa v29, v5, v32 dst_sel:DWORD dst_unused:UNUSED_PAD src0_sel:WORD_1 src1_sel:DWORD
	v_add_f16_e32 v30, v26, v57
	v_add_f16_sdwa v31, v26, v38 dst_sel:DWORD dst_unused:UNUSED_PAD src0_sel:WORD_1 src1_sel:DWORD
	v_lshrrev_b32_e32 v53, 16, v33
	v_fmac_f16_e32 v8, v5, v32
	v_fma_f16 v5, v5, v52, -v29
	v_add_f16_e32 v29, v30, v58
	v_add_f16_e32 v30, v31, v27
	v_lshrrev_b32_e32 v54, 16, v34
	v_fma_f16 v10, v4, v44, -v10
	v_mul_f16_sdwa v4, v6, v53 dst_sel:DWORD dst_unused:UNUSED_PAD src0_sel:WORD_1 src1_sel:DWORD
	v_mul_f16_sdwa v31, v6, v33 dst_sel:DWORD dst_unused:UNUSED_PAD src0_sel:WORD_1 src1_sel:DWORD
	v_add_f16_e32 v29, v29, v50
	v_add_f16_e32 v30, v30, v41
	v_lshrrev_b32_e32 v55, 16, v35
	v_fmac_f16_e32 v4, v6, v33
	v_mul_f16_sdwa v32, v7, v54 dst_sel:DWORD dst_unused:UNUSED_PAD src0_sel:WORD_1 src1_sel:DWORD
	v_fma_f16 v6, v6, v53, -v31
	v_mul_f16_sdwa v31, v7, v34 dst_sel:DWORD dst_unused:UNUSED_PAD src0_sel:WORD_1 src1_sel:DWORD
	v_add_f16_e32 v29, v29, v28
	v_add_f16_e32 v30, v30, v11
	v_lshrrev_b32_e32 v56, 16, v36
	v_fmac_f16_e32 v32, v7, v34
	v_mul_f16_sdwa v33, v0, v55 dst_sel:DWORD dst_unused:UNUSED_PAD src0_sel:WORD_1 src1_sel:DWORD
	v_fma_f16 v7, v7, v54, -v31
	v_mul_f16_sdwa v31, v0, v35 dst_sel:DWORD dst_unused:UNUSED_PAD src0_sel:WORD_1 src1_sel:DWORD
	v_add_f16_e32 v29, v29, v9
	v_add_f16_e32 v30, v30, v10
	v_fmac_f16_e32 v33, v0, v35
	v_mul_f16_sdwa v34, v1, v56 dst_sel:DWORD dst_unused:UNUSED_PAD src0_sel:WORD_1 src1_sel:DWORD
	v_fma_f16 v31, v0, v55, -v31
	v_add_f16_e32 v0, v29, v8
	v_add_f16_e32 v29, v30, v5
	v_mul_f16_sdwa v30, v1, v36 dst_sel:DWORD dst_unused:UNUSED_PAD src0_sel:WORD_1 src1_sel:DWORD
	v_lshrrev_b32_e32 v45, 16, v13
	v_lshrrev_b32_e32 v59, 16, v37
	v_fmac_f16_e32 v34, v1, v36
	v_add_f16_e32 v29, v29, v6
	v_fma_f16 v30, v1, v56, -v30
	v_mul_f16_sdwa v1, v3, v13 dst_sel:DWORD dst_unused:UNUSED_PAD src0_sel:WORD_1 src1_sel:DWORD
	v_mul_f16_sdwa v35, v2, v59 dst_sel:DWORD dst_unused:UNUSED_PAD src0_sel:WORD_1 src1_sel:DWORD
	v_add_f16_e32 v0, v0, v4
	v_add_f16_e32 v29, v29, v7
	v_mul_f16_sdwa v36, v3, v45 dst_sel:DWORD dst_unused:UNUSED_PAD src0_sel:WORD_1 src1_sel:DWORD
	v_fma_f16 v1, v3, v45, -v1
	v_fmac_f16_e32 v35, v2, v37
	v_add_f16_e32 v0, v0, v32
	v_mul_f16_sdwa v37, v2, v37 dst_sel:DWORD dst_unused:UNUSED_PAD src0_sel:WORD_1 src1_sel:DWORD
	v_add_f16_e32 v29, v29, v31
	v_fmac_f16_e32 v36, v3, v13
	v_sub_f16_e32 v3, v38, v1
	v_add_f16_e32 v0, v0, v33
	v_fma_f16 v2, v2, v59, -v37
	v_add_f16_e32 v13, v29, v30
	v_add_f16_e32 v29, v57, v36
	v_mul_f16_e32 v37, 0xb770, v3
	v_add_f16_e32 v0, v0, v34
	v_add_f16_e32 v38, v38, v1
	;; [unrolled: 1-line block ×3, first 2 shown]
	v_sub_f16_e32 v67, v27, v2
	v_fmamk_f16 v43, v29, 0x3b15, v37
	v_add_f16_e32 v0, v0, v35
	v_sub_f16_e32 v42, v57, v36
	v_mul_f16_e32 v44, 0x3b15, v38
	v_add_f16_e32 v1, v13, v1
	v_add_f16_e32 v13, v26, v43
	v_mul_f16_e32 v43, 0xba95, v3
	v_mul_f16_e32 v45, 0x388b, v38
	;; [unrolled: 1-line block ×10, first 2 shown]
	v_add_f16_e32 v69, v58, v35
	v_mul_f16_e32 v70, 0xba95, v67
	v_add_f16_e32 v2, v27, v2
	v_add_f16_e32 v0, v0, v36
	v_fmamk_f16 v36, v42, 0x3770, v44
	v_fma_f16 v37, v29, 0x3b15, -v37
	v_fmac_f16_e32 v44, 0xb770, v42
	v_fmamk_f16 v51, v29, 0x388b, v43
	v_fmamk_f16 v52, v42, 0x3a95, v45
	v_fma_f16 v43, v29, 0x388b, -v43
	v_fmac_f16_e32 v45, 0xba95, v42
	v_fmamk_f16 v54, v29, 0x2fb7, v53
	;; [unrolled: 4-line block ×5, first 2 shown]
	v_fmamk_f16 v68, v42, 0x33a8, v38
	v_fma_f16 v3, v29, 0xbbc4, -v3
	v_fmac_f16_e32 v38, 0xb3a8, v42
	v_sub_f16_e32 v27, v58, v35
	v_fmamk_f16 v29, v69, 0x388b, v70
	v_mul_f16_e32 v35, 0x388b, v2
	v_add_f16_sdwa v36, v26, v36 dst_sel:DWORD dst_unused:UNUSED_PAD src0_sel:WORD_1 src1_sel:DWORD
	v_add_f16_e32 v37, v26, v37
	v_add_f16_sdwa v44, v26, v44 dst_sel:DWORD dst_unused:UNUSED_PAD src0_sel:WORD_1 src1_sel:DWORD
	v_add_f16_e32 v51, v26, v51
	;; [unrolled: 2-line block ×12, first 2 shown]
	v_fmamk_f16 v29, v27, 0x3a95, v35
	v_mul_f16_e32 v38, 0xbb7b, v67
	v_fma_f16 v58, v69, 0x388b, -v70
	v_fmac_f16_e32 v35, 0xba95, v27
	v_mul_f16_e32 v68, 0xb5ac, v2
	v_add_f16_e32 v29, v29, v36
	v_fmamk_f16 v36, v69, 0xb5ac, v38
	v_add_f16_e32 v37, v58, v37
	v_add_f16_e32 v35, v35, v44
	v_fmamk_f16 v44, v27, 0x3b7b, v68
	v_mul_f16_e32 v58, 0xb3a8, v67
	v_add_f16_e32 v36, v36, v51
	v_fma_f16 v38, v69, 0xb5ac, -v38
	v_fmac_f16_e32 v68, 0xbb7b, v27
	v_add_f16_e32 v44, v44, v52
	v_fmamk_f16 v51, v69, 0xbbc4, v58
	v_mul_f16_e32 v52, 0xbbc4, v2
	v_add_f16_e32 v38, v38, v43
	v_add_f16_e32 v43, v68, v45
	v_mul_f16_e32 v45, 0x394e, v67
	v_add_f16_e32 v51, v51, v54
	v_fmamk_f16 v54, v27, 0x33a8, v52
	v_fma_f16 v58, v69, 0xbbc4, -v58
	v_mul_f16_e32 v70, 0xb9fd, v2
	v_fmac_f16_e32 v52, 0xb3a8, v27
	v_fmamk_f16 v68, v69, 0xb9fd, v45
	v_add_f16_e32 v54, v54, v57
	v_add_f16_e32 v53, v58, v53
	v_fmamk_f16 v57, v27, 0xb94e, v70
	v_mul_f16_e32 v58, 0x3bf1, v67
	v_add_f16_e32 v52, v52, v55
	v_add_f16_e32 v55, v68, v59
	v_fma_f16 v45, v69, 0xb9fd, -v45
	v_mul_f16_e32 v59, 0x2fb7, v2
	v_add_f16_e32 v57, v57, v61
	v_fmamk_f16 v61, v69, 0x2fb7, v58
	v_mul_f16_e32 v67, 0x3770, v67
	v_fma_f16 v58, v69, 0x2fb7, -v58
	v_add_f16_e32 v45, v45, v56
	v_fmamk_f16 v56, v27, 0xbbf1, v59
	v_add_f16_e32 v61, v61, v64
	v_fmac_f16_e32 v59, 0x3bf1, v27
	v_fmamk_f16 v64, v69, 0x3b15, v67
	v_add_f16_e32 v58, v58, v62
	v_sub_f16_e32 v62, v41, v30
	v_add_f16_e32 v56, v56, v65
	v_mul_f16_e32 v2, 0x3b15, v2
	v_add_f16_e32 v59, v59, v63
	v_add_f16_e32 v63, v64, v66
	;; [unrolled: 1-line block ×3, first 2 shown]
	v_mul_f16_e32 v66, 0xbbf1, v62
	v_add_f16_e32 v30, v41, v30
	v_fmac_f16_e32 v70, 0x394e, v27
	v_fmamk_f16 v64, v27, 0xb770, v2
	v_fma_f16 v41, v69, 0x3b15, -v67
	v_fmac_f16_e32 v2, 0x3770, v27
	v_sub_f16_e32 v27, v50, v34
	v_fmamk_f16 v34, v65, 0x2fb7, v66
	v_mul_f16_e32 v50, 0x2fb7, v30
	v_add_f16_e32 v42, v64, v42
	v_add_f16_e32 v3, v41, v3
	;; [unrolled: 1-line block ×4, first 2 shown]
	v_fmamk_f16 v26, v27, 0x3bf1, v50
	v_mul_f16_e32 v34, 0xb3a8, v62
	v_fma_f16 v41, v65, 0x2fb7, -v66
	v_fmac_f16_e32 v50, 0xbbf1, v27
	v_mul_f16_e32 v64, 0xbbc4, v30
	v_add_f16_e32 v26, v26, v29
	v_fmamk_f16 v29, v65, 0xbbc4, v34
	v_add_f16_e32 v37, v41, v37
	v_add_f16_e32 v35, v50, v35
	v_fmamk_f16 v41, v27, 0x33a8, v64
	v_mul_f16_e32 v50, 0x3b7b, v62
	v_fma_f16 v34, v65, 0xbbc4, -v34
	v_fmac_f16_e32 v64, 0xb3a8, v27
	v_add_f16_e32 v29, v29, v36
	v_add_f16_e32 v36, v41, v44
	v_fmamk_f16 v41, v65, 0xb5ac, v50
	v_mul_f16_e32 v44, 0xb5ac, v30
	v_add_f16_e32 v34, v34, v38
	v_add_f16_e32 v38, v64, v43
	v_mul_f16_e32 v43, 0x3770, v62
	v_add_f16_e32 v41, v41, v51
	v_fmamk_f16 v51, v27, 0xbb7b, v44
	v_fma_f16 v50, v65, 0xb5ac, -v50
	v_fmac_f16_e32 v44, 0x3b7b, v27
	v_fmamk_f16 v64, v65, 0x3b15, v43
	v_mul_f16_e32 v66, 0x3b15, v30
	v_add_f16_e32 v51, v51, v54
	v_add_f16_e32 v50, v50, v53
	;; [unrolled: 1-line block ×4, first 2 shown]
	v_fmamk_f16 v53, v27, 0xb770, v66
	v_mul_f16_e32 v54, 0xba95, v62
	v_fma_f16 v43, v65, 0x3b15, -v43
	v_mul_f16_e32 v55, 0x388b, v30
	v_mul_f16_e32 v62, 0xb94e, v62
	v_add_f16_e32 v53, v53, v57
	v_fmamk_f16 v57, v65, 0x388b, v54
	v_add_f16_e32 v43, v43, v45
	v_fmamk_f16 v45, v27, 0x3a95, v55
	v_fma_f16 v54, v65, 0x388b, -v54
	v_fmac_f16_e32 v55, 0xba95, v27
	v_add_f16_e32 v57, v57, v61
	v_mul_f16_e32 v30, 0xb9fd, v30
	v_add_f16_e32 v45, v45, v56
	v_fmamk_f16 v56, v65, 0xb9fd, v62
	v_add_f16_e32 v54, v54, v58
	v_sub_f16_e32 v58, v11, v31
	v_add_f16_e32 v61, v28, v33
	v_add_f16_e32 v11, v11, v31
	;; [unrolled: 1-line block ×3, first 2 shown]
	v_fmac_f16_e32 v66, 0x3770, v27
	v_mul_f16_e32 v63, 0xbb7b, v58
	v_add_f16_e32 v55, v55, v59
	v_fmamk_f16 v59, v27, 0x394e, v30
	v_fmac_f16_e32 v30, 0xb94e, v27
	v_sub_f16_e32 v27, v28, v33
	v_fmamk_f16 v28, v61, 0xb5ac, v63
	v_mul_f16_e32 v33, 0xb5ac, v11
	v_fma_f16 v31, v65, 0xb9fd, -v62
	v_add_f16_e32 v2, v30, v2
	v_mul_f16_e32 v30, 0x394e, v58
	v_add_f16_e32 v13, v28, v13
	v_fmamk_f16 v28, v27, 0x3b7b, v33
	v_add_f16_e32 v42, v59, v42
	v_add_f16_e32 v3, v31, v3
	v_fma_f16 v31, v61, 0xb5ac, -v63
	v_fmac_f16_e32 v33, 0xbb7b, v27
	v_mul_f16_e32 v59, 0xb9fd, v11
	v_add_f16_e32 v26, v28, v26
	v_fmamk_f16 v28, v61, 0xb9fd, v30
	v_add_f16_e32 v31, v31, v37
	v_add_f16_e32 v33, v33, v35
	v_fmamk_f16 v35, v27, 0xb94e, v59
	v_mul_f16_e32 v37, 0x3770, v58
	v_add_f16_e32 v28, v28, v29
	v_fma_f16 v29, v61, 0xb9fd, -v30
	v_fmac_f16_e32 v59, 0x394e, v27
	v_add_f16_e32 v30, v35, v36
	v_fmamk_f16 v35, v61, 0x3b15, v37
	v_mul_f16_e32 v36, 0x3b15, v11
	v_add_f16_e32 v29, v29, v34
	v_add_f16_e32 v34, v59, v38
	v_mul_f16_e32 v38, 0xbbf1, v58
	v_add_f16_e32 v35, v35, v41
	v_fmamk_f16 v41, v27, 0xb770, v36
	v_fma_f16 v37, v61, 0x3b15, -v37
	v_fmac_f16_e32 v36, 0x3770, v27
	v_fmamk_f16 v59, v61, 0x2fb7, v38
	v_mul_f16_e32 v62, 0x2fb7, v11
	v_add_f16_e32 v41, v41, v51
	v_add_f16_e32 v37, v37, v50
	;; [unrolled: 1-line block ×4, first 2 shown]
	v_fmamk_f16 v50, v27, 0x3bf1, v62
	v_mul_f16_e32 v51, 0x33a8, v58
	v_fma_f16 v38, v61, 0x2fb7, -v38
	v_mul_f16_e32 v52, 0xbbc4, v11
	v_mul_f16_e32 v58, 0x3a95, v58
	v_add_f16_e32 v50, v50, v53
	v_fmamk_f16 v53, v61, 0xbbc4, v51
	v_add_f16_e32 v38, v38, v43
	v_fmamk_f16 v43, v27, 0xb3a8, v52
	v_fma_f16 v51, v61, 0xbbc4, -v51
	v_fmac_f16_e32 v52, 0x33a8, v27
	v_add_f16_e32 v53, v53, v57
	v_mul_f16_e32 v11, 0x388b, v11
	v_add_f16_e32 v43, v43, v45
	v_fmamk_f16 v45, v61, 0x388b, v58
	v_add_f16_e32 v51, v51, v54
	v_sub_f16_e32 v54, v10, v7
	v_add_f16_e32 v7, v10, v7
	v_fmac_f16_e32 v62, 0xbbf1, v27
	v_add_f16_e32 v45, v45, v56
	v_add_f16_e32 v56, v9, v32
	v_mul_f16_e32 v57, 0xb94e, v54
	v_add_f16_e32 v52, v52, v55
	v_fmamk_f16 v55, v27, 0xba95, v11
	v_fma_f16 v10, v61, 0x388b, -v58
	v_fmac_f16_e32 v11, 0x3a95, v27
	v_sub_f16_e32 v9, v9, v32
	v_fmamk_f16 v27, v56, 0xb9fd, v57
	v_mul_f16_e32 v32, 0xb9fd, v7
	v_add_f16_e32 v42, v55, v42
	v_add_f16_e32 v3, v10, v3
	;; [unrolled: 1-line block ×4, first 2 shown]
	v_fmamk_f16 v11, v9, 0x394e, v32
	v_mul_f16_e32 v13, 0x3bf1, v54
	v_fma_f16 v27, v56, 0xb9fd, -v57
	v_fmac_f16_e32 v32, 0xb94e, v9
	v_mul_f16_e32 v55, 0x2fb7, v7
	v_add_f16_e32 v11, v11, v26
	v_fmamk_f16 v26, v56, 0x2fb7, v13
	v_add_f16_e32 v27, v27, v31
	v_add_f16_e32 v31, v32, v33
	v_fmamk_f16 v32, v9, 0xbbf1, v55
	v_mul_f16_e32 v33, 0xba95, v54
	v_add_f16_e32 v28, v26, v28
	v_fma_f16 v13, v56, 0x2fb7, -v13
	v_fmac_f16_e32 v55, 0x3bf1, v9
	v_add_f16_e32 v30, v32, v30
	v_fmamk_f16 v26, v56, 0x388b, v33
	v_mul_f16_e32 v32, 0x388b, v7
	v_add_f16_e32 v29, v13, v29
	v_mul_f16_e32 v13, 0x33a8, v54
	v_fma_f16 v33, v56, 0x388b, -v33
	v_add_f16_e32 v35, v26, v35
	v_fmamk_f16 v26, v9, 0x3a95, v32
	v_mul_f16_e32 v57, 0xbbc4, v7
	v_add_f16_e32 v34, v55, v34
	v_fmac_f16_e32 v32, 0xba95, v9
	v_fmamk_f16 v55, v56, 0xbbc4, v13
	v_add_f16_e32 v41, v26, v41
	v_add_f16_e32 v33, v33, v37
	v_fmamk_f16 v26, v9, 0xb3a8, v57
	v_mul_f16_e32 v37, 0x3770, v54
	v_add_f16_e32 v32, v32, v36
	v_add_f16_e32 v36, v55, v44
	v_fma_f16 v13, v56, 0xbbc4, -v13
	v_mul_f16_e32 v44, 0x3b15, v7
	v_add_f16_e32 v50, v26, v50
	v_fmamk_f16 v26, v56, 0x3b15, v37
	v_mul_f16_e32 v54, 0xbb7b, v54
	v_add_f16_e32 v38, v13, v38
	v_fmamk_f16 v13, v9, 0xb770, v44
	v_fmac_f16_e32 v44, 0x3770, v9
	v_add_f16_e32 v53, v26, v53
	v_fma_f16 v26, v56, 0x3b15, -v37
	v_mul_f16_e32 v7, 0xb5ac, v7
	v_add_f16_e32 v37, v13, v43
	v_fmamk_f16 v13, v56, 0xb5ac, v54
	v_add_f16_e32 v44, v44, v52
	v_add_f16_e32 v43, v26, v51
	v_sub_f16_e32 v51, v5, v6
	v_add_f16_e32 v52, v8, v4
	v_add_f16_e32 v5, v5, v6
	v_fmac_f16_e32 v57, 0x33a8, v9
	v_add_f16_e32 v45, v13, v45
	v_mul_f16_e32 v26, 0xb3a8, v51
	v_fmamk_f16 v13, v9, 0x3b7b, v7
	v_fma_f16 v6, v56, 0xb5ac, -v54
	v_fmac_f16_e32 v7, 0xbb7b, v9
	v_sub_f16_e32 v4, v8, v4
	v_fmamk_f16 v8, v52, 0xbbc4, v26
	v_mul_f16_e32 v9, 0xbbc4, v5
	v_add_f16_e32 v3, v6, v3
	v_add_f16_e32 v2, v7, v2
	v_mul_f16_e32 v54, 0x3b15, v5
	v_add_f16_e32 v6, v8, v10
	v_fmamk_f16 v7, v4, 0x33a8, v9
	v_mul_f16_e32 v8, 0x3770, v51
	v_fma_f16 v10, v52, 0xbbc4, -v26
	v_fmac_f16_e32 v9, 0xb3a8, v4
	v_add_f16_e32 v42, v13, v42
	v_add_f16_e32 v7, v7, v11
	v_fmamk_f16 v11, v52, 0x3b15, v8
	v_add_f16_e32 v13, v10, v27
	v_add_f16_e32 v26, v9, v31
	v_fmamk_f16 v9, v4, 0xb770, v54
	v_mul_f16_e32 v10, 0xb94e, v51
	v_add_f16_e32 v11, v11, v28
	v_fma_f16 v8, v52, 0x3b15, -v8
	v_fmac_f16_e32 v54, 0x3770, v4
	v_add_f16_e32 v9, v9, v30
	v_fmamk_f16 v27, v52, 0xb9fd, v10
	v_mul_f16_e32 v28, 0xb9fd, v5
	v_mul_f16_e32 v30, 0x3a95, v51
	v_add_f16_e32 v8, v8, v29
	v_add_f16_e32 v29, v54, v34
	;; [unrolled: 1-line block ×3, first 2 shown]
	v_fmamk_f16 v31, v4, 0x394e, v28
	v_fma_f16 v10, v52, 0xb9fd, -v10
	v_fmac_f16_e32 v28, 0xb94e, v4
	v_fmamk_f16 v34, v52, 0x388b, v30
	v_mul_f16_e32 v35, 0x388b, v5
	v_add_f16_e32 v60, v70, v60
	v_add_f16_e32 v10, v10, v33
	;; [unrolled: 1-line block ×4, first 2 shown]
	v_fmamk_f16 v33, v4, 0xba95, v35
	v_mul_f16_e32 v34, 0xbb7b, v51
	v_fma_f16 v30, v52, 0x388b, -v30
	v_mul_f16_e32 v36, 0xb5ac, v5
	v_add_f16_e32 v60, v66, v60
	v_add_f16_e32 v31, v31, v41
	;; [unrolled: 1-line block ×3, first 2 shown]
	v_fmamk_f16 v41, v52, 0xb5ac, v34
	v_add_f16_e32 v30, v30, v38
	v_fmamk_f16 v38, v4, 0x3b7b, v36
	v_fma_f16 v34, v52, 0xb5ac, -v34
	v_mul_f16_e32 v50, 0x3bf1, v51
	v_mul_f16_e32 v5, 0x2fb7, v5
	v_add_f16_e32 v59, v62, v60
	v_add_f16_e32 v37, v38, v37
	;; [unrolled: 1-line block ×3, first 2 shown]
	v_fmac_f16_e32 v36, 0xbb7b, v4
	v_fmamk_f16 v38, v52, 0x2fb7, v50
	v_fmamk_f16 v43, v4, 0xbbf1, v5
	v_fma_f16 v50, v52, 0x2fb7, -v50
	v_fmac_f16_e32 v5, 0x3bf1, v4
	v_add_f16_e32 v55, v57, v59
	v_fmac_f16_e32 v35, 0x3a95, v4
	v_add_f16_e32 v41, v41, v53
	v_pack_b32_f16 v0, v0, v1
	v_pack_b32_f16 v1, v6, v7
	v_add_f16_e32 v4, v36, v44
	v_add_f16_e32 v36, v38, v45
	;; [unrolled: 1-line block ×5, first 2 shown]
	v_pack_b32_f16 v5, v11, v9
	v_pack_b32_f16 v6, v27, v31
	v_add_f16_e32 v35, v35, v55
	ds_write2_b32 v46, v0, v1 offset1:17
	ds_write2_b32 v46, v5, v6 offset0:34 offset1:51
	v_pack_b32_f16 v0, v32, v33
	v_pack_b32_f16 v1, v41, v37
	v_add_nc_u32_e32 v27, 0x200, v39
	v_pack_b32_f16 v5, v36, v38
	v_pack_b32_f16 v2, v3, v2
	;; [unrolled: 1-line block ×7, first 2 shown]
	v_add_nc_u32_e32 v28, 0x800, v39
	ds_write2_b32 v46, v0, v1 offset0:68 offset1:85
	ds_write2_b32 v46, v5, v2 offset0:102 offset1:119
	;; [unrolled: 1-line block ×4, first 2 shown]
	ds_write_b32 v46, v8 offset:816
	s_waitcnt lgkmcnt(0)
	s_barrier
	buffer_gl0_inv
	ds_read2_b32 v[0:1], v39 offset1:51
	ds_read2_b32 v[10:11], v27 offset0:93 offset1:144
	ds_read2_b32 v[8:9], v25 offset0:186 offset1:237
	ds_read2_b32 v[2:3], v39 offset0:102 offset1:153
	ds_read2_b32 v[6:7], v25 offset0:67 offset1:118
	ds_read2_b32 v[4:5], v28 offset0:32 offset1:83
	s_and_saveexec_b32 s1, s0
	s_cbranch_execz .LBB0_19
; %bb.18:
	v_add_nc_u32_e32 v13, 0x300, v39
	ds_read2_b32 v[13:14], v13 offset0:12 offset1:233
	ds_read_b32 v47, v39 offset:2584
	s_waitcnt lgkmcnt(1)
	v_lshrrev_b32_e32 v26, 16, v13
	v_lshrrev_b32_e32 v49, 16, v14
	s_waitcnt lgkmcnt(0)
	v_lshrrev_b32_e32 v48, 16, v47
.LBB0_19:
	s_or_b32 exec_lo, exec_lo, s1
	s_waitcnt lgkmcnt(4)
	v_lshrrev_b32_e32 v30, 16, v10
	s_waitcnt lgkmcnt(3)
	v_lshrrev_b32_e32 v31, 16, v8
	v_lshrrev_b32_e32 v33, 16, v11
	;; [unrolled: 1-line block ×3, first 2 shown]
	v_mul_f16_sdwa v43, v19, v10 dst_sel:DWORD dst_unused:UNUSED_PAD src0_sel:WORD_1 src1_sel:DWORD
	v_mul_f16_sdwa v41, v19, v30 dst_sel:DWORD dst_unused:UNUSED_PAD src0_sel:WORD_1 src1_sel:DWORD
	;; [unrolled: 1-line block ×3, first 2 shown]
	s_waitcnt lgkmcnt(1)
	v_lshrrev_b32_e32 v36, 16, v6
	s_waitcnt lgkmcnt(0)
	v_lshrrev_b32_e32 v37, 16, v4
	v_lshrrev_b32_e32 v42, 16, v7
	v_fmac_f16_e32 v41, v19, v10
	v_mul_f16_sdwa v10, v20, v8 dst_sel:DWORD dst_unused:UNUSED_PAD src0_sel:WORD_1 src1_sel:DWORD
	v_fma_f16 v19, v19, v30, -v43
	v_mul_f16_sdwa v30, v23, v33 dst_sel:DWORD dst_unused:UNUSED_PAD src0_sel:WORD_1 src1_sel:DWORD
	v_fmac_f16_e32 v45, v20, v8
	v_mul_f16_sdwa v8, v23, v11 dst_sel:DWORD dst_unused:UNUSED_PAD src0_sel:WORD_1 src1_sel:DWORD
	v_fma_f16 v10, v20, v31, -v10
	v_mul_f16_sdwa v20, v24, v34 dst_sel:DWORD dst_unused:UNUSED_PAD src0_sel:WORD_1 src1_sel:DWORD
	;; [unrolled: 4-line block ×3, first 2 shown]
	v_fmac_f16_e32 v20, v24, v9
	v_mul_f16_sdwa v9, v21, v6 dst_sel:DWORD dst_unused:UNUSED_PAD src0_sel:WORD_1 src1_sel:DWORD
	v_lshrrev_b32_e32 v44, 16, v5
	v_fma_f16 v11, v24, v34, -v11
	v_mul_f16_sdwa v24, v22, v37 dst_sel:DWORD dst_unused:UNUSED_PAD src0_sel:WORD_1 src1_sel:DWORD
	v_fmac_f16_e32 v23, v21, v6
	v_mul_f16_sdwa v6, v22, v4 dst_sel:DWORD dst_unused:UNUSED_PAD src0_sel:WORD_1 src1_sel:DWORD
	v_fma_f16 v9, v21, v36, -v9
	v_mul_f16_sdwa v21, v17, v42 dst_sel:DWORD dst_unused:UNUSED_PAD src0_sel:WORD_1 src1_sel:DWORD
	v_fmac_f16_e32 v24, v22, v4
	v_mul_f16_sdwa v4, v17, v7 dst_sel:DWORD dst_unused:UNUSED_PAD src0_sel:WORD_1 src1_sel:DWORD
	v_fma_f16 v6, v22, v37, -v6
	v_mul_f16_sdwa v22, v18, v44 dst_sel:DWORD dst_unused:UNUSED_PAD src0_sel:WORD_1 src1_sel:DWORD
	v_fmac_f16_e32 v21, v17, v7
	v_mul_f16_sdwa v7, v18, v5 dst_sel:DWORD dst_unused:UNUSED_PAD src0_sel:WORD_1 src1_sel:DWORD
	v_lshrrev_b32_e32 v29, 16, v0
	v_fma_f16 v4, v17, v42, -v4
	v_add_f16_e32 v17, v41, v45
	v_fmac_f16_e32 v22, v18, v5
	v_fma_f16 v7, v18, v44, -v7
	v_add_f16_e32 v18, v19, v10
	v_add_f16_e32 v5, v0, v41
	v_fma_f16 v0, -0.5, v17, v0
	v_sub_f16_e32 v17, v19, v10
	v_add_f16_e32 v19, v29, v19
	v_fmac_f16_e32 v29, -0.5, v18
	v_sub_f16_e32 v18, v41, v45
	v_lshrrev_b32_e32 v32, 16, v1
	v_fmamk_f16 v31, v17, 0xbaee, v0
	v_fmac_f16_e32 v0, 0x3aee, v17
	v_add_f16_e32 v10, v19, v10
	v_add_f16_e32 v17, v30, v20
	v_fmamk_f16 v19, v18, 0x3aee, v29
	v_fmac_f16_e32 v29, 0xbaee, v18
	v_add_f16_e32 v18, v8, v11
	v_add_f16_e32 v33, v1, v30
	v_fmac_f16_e32 v1, -0.5, v17
	v_sub_f16_e32 v17, v8, v11
	v_add_f16_e32 v8, v32, v8
	v_fmac_f16_e32 v32, -0.5, v18
	v_sub_f16_e32 v18, v30, v20
	v_lshrrev_b32_e32 v35, 16, v2
	v_add_f16_e32 v33, v33, v20
	v_fmamk_f16 v20, v17, 0xbaee, v1
	v_fmac_f16_e32 v1, 0x3aee, v17
	v_add_f16_e32 v8, v8, v11
	v_add_f16_e32 v11, v23, v24
	v_fmamk_f16 v17, v18, 0x3aee, v32
	v_add_f16_e32 v30, v2, v23
	v_fmac_f16_e32 v32, 0xbaee, v18
	v_add_f16_e32 v18, v9, v6
	v_lshrrev_b32_e32 v38, 16, v3
	v_fma_f16 v2, -0.5, v11, v2
	v_sub_f16_e32 v11, v9, v6
	v_add_f16_e32 v30, v30, v24
	v_add_f16_e32 v9, v35, v9
	v_fmac_f16_e32 v35, -0.5, v18
	v_sub_f16_e32 v18, v23, v24
	v_add_f16_e32 v24, v21, v22
	v_add_f16_e32 v34, v4, v7
	;; [unrolled: 1-line block ×3, first 2 shown]
	v_fmamk_f16 v23, v11, 0xbaee, v2
	v_fmac_f16_e32 v2, 0x3aee, v11
	v_add_f16_e32 v11, v3, v21
	v_fmac_f16_e32 v3, -0.5, v24
	v_sub_f16_e32 v24, v4, v7
	v_add_f16_e32 v4, v38, v4
	v_fmac_f16_e32 v38, -0.5, v34
	v_sub_f16_e32 v21, v21, v22
	v_pack_b32_f16 v5, v5, v10
	v_add_f16_e32 v6, v9, v6
	v_add_f16_e32 v4, v4, v7
	v_pack_b32_f16 v7, v33, v8
	v_add_f16_e32 v11, v11, v22
	v_fmamk_f16 v9, v18, 0x3aee, v35
	v_fmac_f16_e32 v35, 0xbaee, v18
	v_fmamk_f16 v18, v24, 0xbaee, v3
	v_fmamk_f16 v8, v21, 0x3aee, v38
	v_fmac_f16_e32 v3, 0x3aee, v24
	v_fmac_f16_e32 v38, 0xbaee, v21
	v_pack_b32_f16 v10, v31, v19
	ds_write2_b32 v39, v5, v7 offset1:51
	v_pack_b32_f16 v5, v20, v17
	v_pack_b32_f16 v0, v0, v29
	;; [unrolled: 1-line block ×9, first 2 shown]
	ds_write2_b32 v27, v10, v5 offset0:93 offset1:144
	ds_write2_b32 v25, v0, v1 offset0:186 offset1:237
	;; [unrolled: 1-line block ×5, first 2 shown]
	s_and_saveexec_b32 s1, s0
	s_cbranch_execz .LBB0_21
; %bb.20:
	v_mul_f16_sdwa v0, v15, v14 dst_sel:DWORD dst_unused:UNUSED_PAD src0_sel:WORD_1 src1_sel:DWORD
	v_mul_f16_sdwa v1, v16, v47 dst_sel:DWORD dst_unused:UNUSED_PAD src0_sel:WORD_1 src1_sel:DWORD
	;; [unrolled: 1-line block ×4, first 2 shown]
	v_fma_f16 v0, v15, v49, -v0
	v_fma_f16 v1, v16, v48, -v1
	v_fmac_f16_e32 v2, v15, v14
	v_fmac_f16_e32 v3, v16, v47
	v_add_f16_e32 v7, v26, v0
	v_add_f16_e32 v4, v0, v1
	v_sub_f16_e32 v0, v0, v1
	v_add_f16_e32 v6, v2, v3
	v_sub_f16_e32 v5, v2, v3
	v_add_f16_e32 v2, v13, v2
	v_fma_f16 v4, -0.5, v4, v26
	v_add_f16_e32 v1, v7, v1
	v_fma_f16 v6, -0.5, v6, v13
	v_add_f16_e32 v2, v2, v3
	v_fmamk_f16 v3, v5, 0xbaee, v4
	v_fmac_f16_e32 v4, 0x3aee, v5
	v_fmamk_f16 v5, v0, 0x3aee, v6
	v_fmac_f16_e32 v6, 0xbaee, v0
	v_add_nc_u32_e32 v0, 0x300, v39
	v_pack_b32_f16 v1, v2, v1
	v_pack_b32_f16 v3, v5, v3
	;; [unrolled: 1-line block ×3, first 2 shown]
	ds_write2_b32 v0, v1, v2 offset0:12 offset1:233
	ds_write_b32 v39, v3 offset:2584
.LBB0_21:
	s_or_b32 exec_lo, exec_lo, s1
	s_waitcnt lgkmcnt(0)
	s_barrier
	buffer_gl0_inv
	s_and_b32 exec_lo, exec_lo, vcc_lo
	s_cbranch_execz .LBB0_23
; %bb.22:
	global_load_dword v0, v39, s[8:9]
	ds_read_b32 v1, v39
	s_mov_b32 s12, 0x18b64019
	s_mov_b32 s13, 0x3f58b640
	v_mad_u64_u32 v[6:7], null, s4, v40, 0
	s_mul_hi_u32 s3, s4, 0x9c
	s_mulk_i32 s4, 0x9c
	s_waitcnt lgkmcnt(0)
	v_lshrrev_b32_e32 v2, 16, v1
	s_waitcnt vmcnt(0)
	v_mul_f16_sdwa v3, v2, v0 dst_sel:DWORD dst_unused:UNUSED_PAD src0_sel:DWORD src1_sel:WORD_1
	v_mul_f16_sdwa v4, v1, v0 dst_sel:DWORD dst_unused:UNUSED_PAD src0_sel:DWORD src1_sel:WORD_1
	v_fmac_f16_e32 v3, v1, v0
	v_fma_f16 v0, v0, v2, -v4
	v_mad_u64_u32 v[4:5], null, s6, v12, 0
	v_cvt_f32_f16_e32 v1, v3
	v_cvt_f32_f16_e32 v2, v0
	v_cvt_f64_f32_e32 v[0:1], v1
	v_cvt_f64_f32_e32 v[2:3], v2
	v_mul_f64 v[0:1], v[0:1], s[12:13]
	v_mul_f64 v[2:3], v[2:3], s[12:13]
	v_and_or_b32 v0, 0x1ff, v1, v0
	v_and_or_b32 v2, 0x1ff, v3, v2
	v_lshrrev_b32_e32 v8, 8, v1
	v_bfe_u32 v10, v1, 20, 11
	v_bfe_u32 v11, v3, 20, 11
	v_cmp_ne_u32_e32 vcc_lo, 0, v0
	v_lshrrev_b32_e32 v9, 8, v3
	v_mov_b32_e32 v0, v7
	v_sub_nc_u32_e32 v14, 0x3f1, v10
	v_sub_nc_u32_e32 v15, 0x3f1, v11
	v_cndmask_b32_e64 v13, 0, 1, vcc_lo
	v_cmp_ne_u32_e32 vcc_lo, 0, v2
	v_add_nc_u32_e32 v10, 0xfffffc10, v10
	v_add_nc_u32_e32 v11, 0xfffffc10, v11
	v_lshrrev_b32_e32 v3, 16, v3
	v_and_or_b32 v13, 0xffe, v8, v13
	v_cndmask_b32_e64 v2, 0, 1, vcc_lo
	v_mad_u64_u32 v[7:8], null, s7, v12, v[5:6]
	v_med3_i32 v12, v14, 0, 13
	v_med3_i32 v14, v15, 0, 13
	v_and_or_b32 v2, 0xffe, v9, v2
	v_or_b32_e32 v15, 0x1000, v13
	v_mad_u64_u32 v[8:9], null, s5, v40, v[0:1]
	v_mov_b32_e32 v5, v7
	v_or_b32_e32 v16, 0x1000, v2
	v_lshrrev_b32_e32 v0, v12, v15
	v_lshlrev_b64 v[4:5], 2, v[4:5]
	v_lshrrev_b32_e32 v9, v14, v16
	v_lshlrev_b32_e32 v12, v12, v0
	v_mov_b32_e32 v7, v8
	v_lshlrev_b32_e32 v8, v14, v9
	v_cmp_ne_u32_e32 vcc_lo, v12, v15
	v_lshl_or_b32 v14, v10, 12, v13
	v_cndmask_b32_e64 v12, 0, 1, vcc_lo
	v_cmp_ne_u32_e32 vcc_lo, v8, v16
	v_or_b32_e32 v0, v0, v12
	v_cndmask_b32_e64 v8, 0, 1, vcc_lo
	v_cmp_gt_i32_e32 vcc_lo, 1, v10
	v_lshl_or_b32 v12, v11, 12, v2
	v_or_b32_e32 v8, v9, v8
	v_cndmask_b32_e32 v0, v14, v0, vcc_lo
	v_cmp_gt_i32_e32 vcc_lo, 1, v11
	v_lshrrev_b32_e32 v9, 16, v1
	v_cndmask_b32_e32 v1, v12, v8, vcc_lo
	v_cmp_ne_u32_e32 vcc_lo, 0, v13
	v_and_b32_e32 v12, 7, v0
	v_lshrrev_b32_e32 v0, 2, v0
	v_and_b32_e32 v13, 7, v1
	v_cndmask_b32_e64 v8, 0, 1, vcc_lo
	v_cmp_ne_u32_e32 vcc_lo, 0, v2
	v_cmp_eq_u32_e64 s0, 3, v12
	v_lshrrev_b32_e32 v1, 2, v1
	v_cmp_lt_i32_e64 s1, 5, v13
	v_cmp_eq_u32_e64 s2, 3, v13
	v_cndmask_b32_e64 v2, 0, 1, vcc_lo
	v_cmp_lt_i32_e32 vcc_lo, 5, v12
	v_lshl_or_b32 v8, v8, 9, 0x7c00
	v_lshl_or_b32 v2, v2, 9, 0x7c00
	s_or_b32 vcc_lo, s0, vcc_lo
	v_add_co_ci_u32_e32 v0, vcc_lo, 0, v0, vcc_lo
	s_or_b32 vcc_lo, s2, s1
	v_add_co_ci_u32_e32 v1, vcc_lo, 0, v1, vcc_lo
	v_cmp_gt_i32_e32 vcc_lo, 31, v10
	v_cndmask_b32_e32 v0, 0x7c00, v0, vcc_lo
	v_cmp_gt_i32_e32 vcc_lo, 31, v11
	v_cndmask_b32_e32 v12, 0x7c00, v1, vcc_lo
	v_cmp_eq_u32_e32 vcc_lo, 0x40f, v10
	v_cndmask_b32_e32 v8, v0, v8, vcc_lo
	v_cmp_eq_u32_e32 vcc_lo, 0x40f, v11
	v_lshlrev_b64 v[0:1], 2, v[6:7]
	v_and_or_b32 v6, 0x8000, v9, v8
	v_cndmask_b32_e32 v2, v12, v2, vcc_lo
	v_add_co_u32 v4, vcc_lo, s10, v4
	v_add_co_ci_u32_e32 v5, vcc_lo, s11, v5, vcc_lo
	v_and_or_b32 v2, 0x8000, v3, v2
	v_and_b32_e32 v3, 0xffff, v6
	v_add_co_u32 v0, vcc_lo, v4, v0
	v_add_co_ci_u32_e32 v1, vcc_lo, v5, v1, vcc_lo
	v_lshl_or_b32 v2, v2, 16, v3
	global_store_dword v[0:1], v2, off
	global_load_dword v4, v39, s[8:9] offset:156
	ds_read2_b32 v[2:3], v39 offset0:39 offset1:78
	s_waitcnt lgkmcnt(0)
	v_lshrrev_b32_e32 v5, 16, v2
	s_waitcnt vmcnt(0)
	v_mul_f16_sdwa v6, v5, v4 dst_sel:DWORD dst_unused:UNUSED_PAD src0_sel:DWORD src1_sel:WORD_1
	v_mul_f16_sdwa v7, v2, v4 dst_sel:DWORD dst_unused:UNUSED_PAD src0_sel:DWORD src1_sel:WORD_1
	v_fmac_f16_e32 v6, v2, v4
	v_fma_f16 v2, v4, v5, -v7
	v_cvt_f32_f16_e32 v4, v6
	v_cvt_f32_f16_e32 v2, v2
	v_cvt_f64_f32_e32 v[4:5], v4
	v_cvt_f64_f32_e32 v[6:7], v2
	v_mul_f64 v[4:5], v[4:5], s[12:13]
	v_mul_f64 v[6:7], v[6:7], s[12:13]
	v_and_or_b32 v2, 0x1ff, v5, v4
	v_and_or_b32 v6, 0x1ff, v7, v6
	v_lshrrev_b32_e32 v4, 8, v5
	v_bfe_u32 v8, v5, 20, 11
	v_lshrrev_b32_e32 v9, 8, v7
	v_cmp_ne_u32_e32 vcc_lo, 0, v2
	v_bfe_u32 v10, v7, 20, 11
	v_lshrrev_b32_e32 v5, 16, v5
	v_sub_nc_u32_e32 v11, 0x3f1, v8
	v_add_nc_u32_e32 v8, 0xfffffc10, v8
	v_cndmask_b32_e64 v2, 0, 1, vcc_lo
	v_cmp_ne_u32_e32 vcc_lo, 0, v6
	v_lshrrev_b32_e32 v7, 16, v7
	v_and_or_b32 v2, 0xffe, v4, v2
	v_cndmask_b32_e64 v6, 0, 1, vcc_lo
	v_sub_nc_u32_e32 v4, 0x3f1, v10
	v_add_nc_u32_e32 v10, 0xfffffc10, v10
	v_and_or_b32 v6, 0xffe, v9, v6
	v_med3_i32 v9, v11, 0, 13
	v_or_b32_e32 v11, 0x1000, v2
	v_med3_i32 v4, v4, 0, 13
	v_or_b32_e32 v12, 0x1000, v6
	v_lshrrev_b32_e32 v13, v9, v11
	v_lshrrev_b32_e32 v14, v4, v12
	v_lshlrev_b32_e32 v9, v9, v13
	v_lshlrev_b32_e32 v4, v4, v14
	v_cmp_ne_u32_e32 vcc_lo, v9, v11
	v_lshl_or_b32 v11, v8, 12, v2
	v_cndmask_b32_e64 v9, 0, 1, vcc_lo
	v_cmp_ne_u32_e32 vcc_lo, v4, v12
	v_lshl_or_b32 v12, v10, 12, v6
	v_or_b32_e32 v9, v13, v9
	v_cndmask_b32_e64 v4, 0, 1, vcc_lo
	v_cmp_gt_i32_e32 vcc_lo, 1, v8
	v_or_b32_e32 v4, v14, v4
	v_cndmask_b32_e32 v9, v11, v9, vcc_lo
	v_cmp_gt_i32_e32 vcc_lo, 1, v10
	v_and_b32_e32 v11, 7, v9
	v_cndmask_b32_e32 v4, v12, v4, vcc_lo
	v_cmp_ne_u32_e32 vcc_lo, 0, v2
	v_lshrrev_b32_e32 v9, 2, v9
	v_cmp_eq_u32_e64 s0, 3, v11
	v_and_b32_e32 v12, 7, v4
	v_cndmask_b32_e64 v2, 0, 1, vcc_lo
	v_cmp_ne_u32_e32 vcc_lo, 0, v6
	v_lshrrev_b32_e32 v4, 2, v4
	v_cmp_lt_i32_e64 s1, 5, v12
	v_cmp_eq_u32_e64 s2, 3, v12
	v_cndmask_b32_e64 v6, 0, 1, vcc_lo
	v_cmp_lt_i32_e32 vcc_lo, 5, v11
	v_lshl_or_b32 v2, v2, 9, 0x7c00
	v_lshl_or_b32 v6, v6, 9, 0x7c00
	s_or_b32 vcc_lo, s0, vcc_lo
	s_mul_i32 s0, s5, 0x9c
	v_add_co_ci_u32_e32 v9, vcc_lo, 0, v9, vcc_lo
	s_or_b32 vcc_lo, s2, s1
	s_add_i32 s3, s3, s0
	v_add_co_ci_u32_e32 v4, vcc_lo, 0, v4, vcc_lo
	v_cmp_gt_i32_e32 vcc_lo, 31, v8
	v_cndmask_b32_e32 v9, 0x7c00, v9, vcc_lo
	v_cmp_gt_i32_e32 vcc_lo, 31, v10
	v_cndmask_b32_e32 v4, 0x7c00, v4, vcc_lo
	v_cmp_eq_u32_e32 vcc_lo, 0x40f, v8
	v_cndmask_b32_e32 v2, v9, v2, vcc_lo
	v_cmp_eq_u32_e32 vcc_lo, 0x40f, v10
	v_and_or_b32 v2, 0x8000, v5, v2
	v_cndmask_b32_e32 v4, v4, v6, vcc_lo
	v_add_co_u32 v0, vcc_lo, v0, s4
	v_add_co_ci_u32_e32 v1, vcc_lo, s3, v1, vcc_lo
	v_and_or_b32 v4, 0x8000, v7, v4
	v_and_b32_e32 v2, 0xffff, v2
	v_lshl_or_b32 v2, v4, 16, v2
	v_lshrrev_b32_e32 v4, 16, v3
	global_store_dword v[0:1], v2, off
	global_load_dword v2, v39, s[8:9] offset:312
	s_waitcnt vmcnt(0)
	v_mul_f16_sdwa v5, v4, v2 dst_sel:DWORD dst_unused:UNUSED_PAD src0_sel:DWORD src1_sel:WORD_1
	v_mul_f16_sdwa v6, v3, v2 dst_sel:DWORD dst_unused:UNUSED_PAD src0_sel:DWORD src1_sel:WORD_1
	v_fmac_f16_e32 v5, v3, v2
	v_fma_f16 v2, v2, v4, -v6
	v_cvt_f32_f16_e32 v3, v5
	v_cvt_f32_f16_e32 v4, v2
	v_cvt_f64_f32_e32 v[2:3], v3
	v_cvt_f64_f32_e32 v[4:5], v4
	v_mul_f64 v[2:3], v[2:3], s[12:13]
	v_mul_f64 v[4:5], v[4:5], s[12:13]
	v_and_or_b32 v2, 0x1ff, v3, v2
	v_and_or_b32 v4, 0x1ff, v5, v4
	v_lshrrev_b32_e32 v6, 8, v3
	v_bfe_u32 v7, v3, 20, 11
	v_lshrrev_b32_e32 v8, 8, v5
	v_cmp_ne_u32_e32 vcc_lo, 0, v2
	v_bfe_u32 v9, v5, 20, 11
	v_lshrrev_b32_e32 v3, 16, v3
	v_sub_nc_u32_e32 v10, 0x3f1, v7
	v_add_nc_u32_e32 v7, 0xfffffc10, v7
	v_cndmask_b32_e64 v2, 0, 1, vcc_lo
	v_cmp_ne_u32_e32 vcc_lo, 0, v4
	v_lshrrev_b32_e32 v5, 16, v5
	v_and_or_b32 v2, 0xffe, v6, v2
	v_cndmask_b32_e64 v4, 0, 1, vcc_lo
	v_sub_nc_u32_e32 v6, 0x3f1, v9
	v_add_nc_u32_e32 v9, 0xfffffc10, v9
	v_and_or_b32 v4, 0xffe, v8, v4
	v_med3_i32 v8, v10, 0, 13
	v_or_b32_e32 v10, 0x1000, v2
	v_med3_i32 v6, v6, 0, 13
	v_or_b32_e32 v11, 0x1000, v4
	v_lshrrev_b32_e32 v12, v8, v10
	v_lshrrev_b32_e32 v13, v6, v11
	v_lshlrev_b32_e32 v8, v8, v12
	v_lshlrev_b32_e32 v6, v6, v13
	v_cmp_ne_u32_e32 vcc_lo, v8, v10
	v_lshl_or_b32 v10, v7, 12, v2
	v_cndmask_b32_e64 v8, 0, 1, vcc_lo
	v_cmp_ne_u32_e32 vcc_lo, v6, v11
	v_lshl_or_b32 v11, v9, 12, v4
	v_or_b32_e32 v8, v12, v8
	v_cndmask_b32_e64 v6, 0, 1, vcc_lo
	v_cmp_gt_i32_e32 vcc_lo, 1, v7
	v_or_b32_e32 v6, v13, v6
	v_cndmask_b32_e32 v8, v10, v8, vcc_lo
	v_cmp_gt_i32_e32 vcc_lo, 1, v9
	v_and_b32_e32 v10, 7, v8
	v_cndmask_b32_e32 v6, v11, v6, vcc_lo
	v_cmp_ne_u32_e32 vcc_lo, 0, v2
	v_lshrrev_b32_e32 v8, 2, v8
	v_cmp_eq_u32_e64 s0, 3, v10
	v_and_b32_e32 v11, 7, v6
	v_cndmask_b32_e64 v2, 0, 1, vcc_lo
	v_cmp_ne_u32_e32 vcc_lo, 0, v4
	v_lshrrev_b32_e32 v6, 2, v6
	v_cmp_lt_i32_e64 s1, 5, v11
	v_cmp_eq_u32_e64 s2, 3, v11
	v_cndmask_b32_e64 v4, 0, 1, vcc_lo
	v_cmp_lt_i32_e32 vcc_lo, 5, v10
	v_lshl_or_b32 v2, v2, 9, 0x7c00
	v_lshl_or_b32 v4, v4, 9, 0x7c00
	s_or_b32 vcc_lo, s0, vcc_lo
	v_add_co_ci_u32_e32 v8, vcc_lo, 0, v8, vcc_lo
	s_or_b32 vcc_lo, s2, s1
	v_add_co_ci_u32_e32 v6, vcc_lo, 0, v6, vcc_lo
	v_cmp_gt_i32_e32 vcc_lo, 31, v7
	v_cndmask_b32_e32 v8, 0x7c00, v8, vcc_lo
	v_cmp_gt_i32_e32 vcc_lo, 31, v9
	v_cndmask_b32_e32 v6, 0x7c00, v6, vcc_lo
	v_cmp_eq_u32_e32 vcc_lo, 0x40f, v7
	v_cndmask_b32_e32 v2, v8, v2, vcc_lo
	v_cmp_eq_u32_e32 vcc_lo, 0x40f, v9
	v_and_or_b32 v2, 0x8000, v3, v2
	v_cndmask_b32_e32 v4, v6, v4, vcc_lo
	v_add_co_u32 v0, vcc_lo, v0, s4
	v_add_co_ci_u32_e32 v1, vcc_lo, s3, v1, vcc_lo
	v_and_or_b32 v3, 0x8000, v5, v4
	v_and_b32_e32 v2, 0xffff, v2
	v_lshl_or_b32 v2, v3, 16, v2
	global_store_dword v[0:1], v2, off
	global_load_dword v4, v39, s[8:9] offset:468
	ds_read2_b32 v[2:3], v39 offset0:117 offset1:156
	s_waitcnt lgkmcnt(0)
	v_lshrrev_b32_e32 v5, 16, v2
	s_waitcnt vmcnt(0)
	v_mul_f16_sdwa v6, v5, v4 dst_sel:DWORD dst_unused:UNUSED_PAD src0_sel:DWORD src1_sel:WORD_1
	v_mul_f16_sdwa v7, v2, v4 dst_sel:DWORD dst_unused:UNUSED_PAD src0_sel:DWORD src1_sel:WORD_1
	v_fmac_f16_e32 v6, v2, v4
	v_fma_f16 v2, v4, v5, -v7
	v_cvt_f32_f16_e32 v4, v6
	v_cvt_f32_f16_e32 v2, v2
	v_cvt_f64_f32_e32 v[4:5], v4
	v_cvt_f64_f32_e32 v[6:7], v2
	v_mul_f64 v[4:5], v[4:5], s[12:13]
	v_mul_f64 v[6:7], v[6:7], s[12:13]
	v_and_or_b32 v2, 0x1ff, v5, v4
	v_and_or_b32 v6, 0x1ff, v7, v6
	v_lshrrev_b32_e32 v4, 8, v5
	v_bfe_u32 v8, v5, 20, 11
	v_lshrrev_b32_e32 v9, 8, v7
	v_cmp_ne_u32_e32 vcc_lo, 0, v2
	v_bfe_u32 v10, v7, 20, 11
	v_lshrrev_b32_e32 v5, 16, v5
	v_sub_nc_u32_e32 v11, 0x3f1, v8
	v_add_nc_u32_e32 v8, 0xfffffc10, v8
	v_cndmask_b32_e64 v2, 0, 1, vcc_lo
	v_cmp_ne_u32_e32 vcc_lo, 0, v6
	v_lshrrev_b32_e32 v7, 16, v7
	v_and_or_b32 v2, 0xffe, v4, v2
	v_cndmask_b32_e64 v6, 0, 1, vcc_lo
	v_sub_nc_u32_e32 v4, 0x3f1, v10
	v_add_nc_u32_e32 v10, 0xfffffc10, v10
	v_and_or_b32 v6, 0xffe, v9, v6
	v_med3_i32 v9, v11, 0, 13
	v_or_b32_e32 v11, 0x1000, v2
	v_med3_i32 v4, v4, 0, 13
	v_or_b32_e32 v12, 0x1000, v6
	v_lshrrev_b32_e32 v13, v9, v11
	v_lshrrev_b32_e32 v14, v4, v12
	v_lshlrev_b32_e32 v9, v9, v13
	v_lshlrev_b32_e32 v4, v4, v14
	v_cmp_ne_u32_e32 vcc_lo, v9, v11
	v_lshl_or_b32 v11, v8, 12, v2
	v_cndmask_b32_e64 v9, 0, 1, vcc_lo
	v_cmp_ne_u32_e32 vcc_lo, v4, v12
	v_lshl_or_b32 v12, v10, 12, v6
	v_or_b32_e32 v9, v13, v9
	v_cndmask_b32_e64 v4, 0, 1, vcc_lo
	v_cmp_gt_i32_e32 vcc_lo, 1, v8
	v_or_b32_e32 v4, v14, v4
	v_cndmask_b32_e32 v9, v11, v9, vcc_lo
	v_cmp_gt_i32_e32 vcc_lo, 1, v10
	v_and_b32_e32 v11, 7, v9
	v_cndmask_b32_e32 v4, v12, v4, vcc_lo
	v_cmp_ne_u32_e32 vcc_lo, 0, v2
	v_lshrrev_b32_e32 v9, 2, v9
	v_cmp_eq_u32_e64 s0, 3, v11
	v_and_b32_e32 v12, 7, v4
	v_cndmask_b32_e64 v2, 0, 1, vcc_lo
	v_cmp_ne_u32_e32 vcc_lo, 0, v6
	v_lshrrev_b32_e32 v4, 2, v4
	v_cmp_lt_i32_e64 s1, 5, v12
	v_cmp_eq_u32_e64 s2, 3, v12
	v_cndmask_b32_e64 v6, 0, 1, vcc_lo
	v_cmp_lt_i32_e32 vcc_lo, 5, v11
	v_lshl_or_b32 v2, v2, 9, 0x7c00
	v_lshl_or_b32 v6, v6, 9, 0x7c00
	s_or_b32 vcc_lo, s0, vcc_lo
	v_add_co_ci_u32_e32 v9, vcc_lo, 0, v9, vcc_lo
	s_or_b32 vcc_lo, s2, s1
	v_add_co_ci_u32_e32 v4, vcc_lo, 0, v4, vcc_lo
	v_cmp_gt_i32_e32 vcc_lo, 31, v8
	v_cndmask_b32_e32 v9, 0x7c00, v9, vcc_lo
	v_cmp_gt_i32_e32 vcc_lo, 31, v10
	v_cndmask_b32_e32 v4, 0x7c00, v4, vcc_lo
	v_cmp_eq_u32_e32 vcc_lo, 0x40f, v8
	v_cndmask_b32_e32 v2, v9, v2, vcc_lo
	v_cmp_eq_u32_e32 vcc_lo, 0x40f, v10
	v_and_or_b32 v2, 0x8000, v5, v2
	v_cndmask_b32_e32 v4, v4, v6, vcc_lo
	v_add_co_u32 v0, vcc_lo, v0, s4
	v_add_co_ci_u32_e32 v1, vcc_lo, s3, v1, vcc_lo
	v_and_or_b32 v4, 0x8000, v7, v4
	v_and_b32_e32 v2, 0xffff, v2
	v_lshl_or_b32 v2, v4, 16, v2
	v_lshrrev_b32_e32 v4, 16, v3
	global_store_dword v[0:1], v2, off
	global_load_dword v2, v39, s[8:9] offset:624
	s_waitcnt vmcnt(0)
	v_mul_f16_sdwa v5, v4, v2 dst_sel:DWORD dst_unused:UNUSED_PAD src0_sel:DWORD src1_sel:WORD_1
	v_mul_f16_sdwa v6, v3, v2 dst_sel:DWORD dst_unused:UNUSED_PAD src0_sel:DWORD src1_sel:WORD_1
	v_fmac_f16_e32 v5, v3, v2
	v_fma_f16 v2, v2, v4, -v6
	v_cvt_f32_f16_e32 v3, v5
	v_cvt_f32_f16_e32 v4, v2
	v_cvt_f64_f32_e32 v[2:3], v3
	v_cvt_f64_f32_e32 v[4:5], v4
	v_mul_f64 v[2:3], v[2:3], s[12:13]
	v_mul_f64 v[4:5], v[4:5], s[12:13]
	v_and_or_b32 v2, 0x1ff, v3, v2
	v_and_or_b32 v4, 0x1ff, v5, v4
	v_lshrrev_b32_e32 v6, 8, v3
	v_bfe_u32 v7, v3, 20, 11
	v_lshrrev_b32_e32 v8, 8, v5
	v_cmp_ne_u32_e32 vcc_lo, 0, v2
	v_bfe_u32 v9, v5, 20, 11
	v_lshrrev_b32_e32 v3, 16, v3
	v_sub_nc_u32_e32 v10, 0x3f1, v7
	v_add_nc_u32_e32 v7, 0xfffffc10, v7
	v_cndmask_b32_e64 v2, 0, 1, vcc_lo
	v_cmp_ne_u32_e32 vcc_lo, 0, v4
	v_lshrrev_b32_e32 v5, 16, v5
	v_and_or_b32 v2, 0xffe, v6, v2
	v_cndmask_b32_e64 v4, 0, 1, vcc_lo
	v_sub_nc_u32_e32 v6, 0x3f1, v9
	v_add_nc_u32_e32 v9, 0xfffffc10, v9
	v_and_or_b32 v4, 0xffe, v8, v4
	v_med3_i32 v8, v10, 0, 13
	v_or_b32_e32 v10, 0x1000, v2
	v_med3_i32 v6, v6, 0, 13
	v_or_b32_e32 v11, 0x1000, v4
	v_lshrrev_b32_e32 v12, v8, v10
	v_lshrrev_b32_e32 v13, v6, v11
	v_lshlrev_b32_e32 v8, v8, v12
	v_lshlrev_b32_e32 v6, v6, v13
	v_cmp_ne_u32_e32 vcc_lo, v8, v10
	v_lshl_or_b32 v10, v7, 12, v2
	v_cndmask_b32_e64 v8, 0, 1, vcc_lo
	v_cmp_ne_u32_e32 vcc_lo, v6, v11
	v_lshl_or_b32 v11, v9, 12, v4
	v_or_b32_e32 v8, v12, v8
	v_cndmask_b32_e64 v6, 0, 1, vcc_lo
	v_cmp_gt_i32_e32 vcc_lo, 1, v7
	v_or_b32_e32 v6, v13, v6
	v_cndmask_b32_e32 v8, v10, v8, vcc_lo
	v_cmp_gt_i32_e32 vcc_lo, 1, v9
	v_and_b32_e32 v10, 7, v8
	v_cndmask_b32_e32 v6, v11, v6, vcc_lo
	v_cmp_ne_u32_e32 vcc_lo, 0, v2
	v_lshrrev_b32_e32 v8, 2, v8
	v_cmp_eq_u32_e64 s0, 3, v10
	v_and_b32_e32 v11, 7, v6
	v_cndmask_b32_e64 v2, 0, 1, vcc_lo
	v_cmp_ne_u32_e32 vcc_lo, 0, v4
	v_lshrrev_b32_e32 v6, 2, v6
	v_cmp_lt_i32_e64 s1, 5, v11
	v_cmp_eq_u32_e64 s2, 3, v11
	v_cndmask_b32_e64 v4, 0, 1, vcc_lo
	v_cmp_lt_i32_e32 vcc_lo, 5, v10
	v_lshl_or_b32 v2, v2, 9, 0x7c00
	v_lshl_or_b32 v4, v4, 9, 0x7c00
	s_or_b32 vcc_lo, s0, vcc_lo
	v_add_co_ci_u32_e32 v8, vcc_lo, 0, v8, vcc_lo
	s_or_b32 vcc_lo, s2, s1
	v_add_co_ci_u32_e32 v6, vcc_lo, 0, v6, vcc_lo
	v_cmp_gt_i32_e32 vcc_lo, 31, v7
	v_cndmask_b32_e32 v8, 0x7c00, v8, vcc_lo
	v_cmp_gt_i32_e32 vcc_lo, 31, v9
	v_cndmask_b32_e32 v6, 0x7c00, v6, vcc_lo
	v_cmp_eq_u32_e32 vcc_lo, 0x40f, v7
	v_cndmask_b32_e32 v2, v8, v2, vcc_lo
	v_cmp_eq_u32_e32 vcc_lo, 0x40f, v9
	v_and_or_b32 v2, 0x8000, v3, v2
	v_cndmask_b32_e32 v4, v6, v4, vcc_lo
	v_add_co_u32 v0, vcc_lo, v0, s4
	v_add_co_ci_u32_e32 v1, vcc_lo, s3, v1, vcc_lo
	v_and_or_b32 v3, 0x8000, v5, v4
	v_and_b32_e32 v2, 0xffff, v2
	v_lshl_or_b32 v2, v3, 16, v2
	global_store_dword v[0:1], v2, off
	global_load_dword v4, v39, s[8:9] offset:780
	ds_read2_b32 v[2:3], v39 offset0:195 offset1:234
	s_waitcnt lgkmcnt(0)
	v_lshrrev_b32_e32 v5, 16, v2
	s_waitcnt vmcnt(0)
	v_mul_f16_sdwa v6, v5, v4 dst_sel:DWORD dst_unused:UNUSED_PAD src0_sel:DWORD src1_sel:WORD_1
	v_mul_f16_sdwa v7, v2, v4 dst_sel:DWORD dst_unused:UNUSED_PAD src0_sel:DWORD src1_sel:WORD_1
	v_fmac_f16_e32 v6, v2, v4
	v_fma_f16 v2, v4, v5, -v7
	v_cvt_f32_f16_e32 v4, v6
	v_cvt_f32_f16_e32 v2, v2
	v_cvt_f64_f32_e32 v[4:5], v4
	v_cvt_f64_f32_e32 v[6:7], v2
	v_mul_f64 v[4:5], v[4:5], s[12:13]
	v_mul_f64 v[6:7], v[6:7], s[12:13]
	v_and_or_b32 v2, 0x1ff, v5, v4
	v_and_or_b32 v6, 0x1ff, v7, v6
	v_lshrrev_b32_e32 v4, 8, v5
	v_bfe_u32 v8, v5, 20, 11
	v_lshrrev_b32_e32 v9, 8, v7
	v_cmp_ne_u32_e32 vcc_lo, 0, v2
	v_bfe_u32 v10, v7, 20, 11
	v_lshrrev_b32_e32 v5, 16, v5
	v_sub_nc_u32_e32 v11, 0x3f1, v8
	v_add_nc_u32_e32 v8, 0xfffffc10, v8
	v_cndmask_b32_e64 v2, 0, 1, vcc_lo
	v_cmp_ne_u32_e32 vcc_lo, 0, v6
	v_lshrrev_b32_e32 v7, 16, v7
	v_and_or_b32 v2, 0xffe, v4, v2
	v_cndmask_b32_e64 v6, 0, 1, vcc_lo
	v_sub_nc_u32_e32 v4, 0x3f1, v10
	v_add_nc_u32_e32 v10, 0xfffffc10, v10
	v_and_or_b32 v6, 0xffe, v9, v6
	v_med3_i32 v9, v11, 0, 13
	v_or_b32_e32 v11, 0x1000, v2
	v_med3_i32 v4, v4, 0, 13
	v_or_b32_e32 v12, 0x1000, v6
	v_lshrrev_b32_e32 v13, v9, v11
	v_lshrrev_b32_e32 v14, v4, v12
	v_lshlrev_b32_e32 v9, v9, v13
	v_lshlrev_b32_e32 v4, v4, v14
	v_cmp_ne_u32_e32 vcc_lo, v9, v11
	v_lshl_or_b32 v11, v8, 12, v2
	v_cndmask_b32_e64 v9, 0, 1, vcc_lo
	v_cmp_ne_u32_e32 vcc_lo, v4, v12
	v_lshl_or_b32 v12, v10, 12, v6
	v_or_b32_e32 v9, v13, v9
	v_cndmask_b32_e64 v4, 0, 1, vcc_lo
	v_cmp_gt_i32_e32 vcc_lo, 1, v8
	v_or_b32_e32 v4, v14, v4
	v_cndmask_b32_e32 v9, v11, v9, vcc_lo
	v_cmp_gt_i32_e32 vcc_lo, 1, v10
	v_and_b32_e32 v11, 7, v9
	v_cndmask_b32_e32 v4, v12, v4, vcc_lo
	v_cmp_ne_u32_e32 vcc_lo, 0, v2
	v_lshrrev_b32_e32 v9, 2, v9
	v_cmp_eq_u32_e64 s0, 3, v11
	v_and_b32_e32 v12, 7, v4
	v_cndmask_b32_e64 v2, 0, 1, vcc_lo
	v_cmp_ne_u32_e32 vcc_lo, 0, v6
	v_lshrrev_b32_e32 v4, 2, v4
	v_cmp_lt_i32_e64 s1, 5, v12
	v_cmp_eq_u32_e64 s2, 3, v12
	v_cndmask_b32_e64 v6, 0, 1, vcc_lo
	v_cmp_lt_i32_e32 vcc_lo, 5, v11
	v_lshl_or_b32 v2, v2, 9, 0x7c00
	v_lshl_or_b32 v6, v6, 9, 0x7c00
	s_or_b32 vcc_lo, s0, vcc_lo
	v_add_co_ci_u32_e32 v9, vcc_lo, 0, v9, vcc_lo
	s_or_b32 vcc_lo, s2, s1
	v_add_co_ci_u32_e32 v4, vcc_lo, 0, v4, vcc_lo
	v_cmp_gt_i32_e32 vcc_lo, 31, v8
	v_cndmask_b32_e32 v9, 0x7c00, v9, vcc_lo
	v_cmp_gt_i32_e32 vcc_lo, 31, v10
	v_cndmask_b32_e32 v4, 0x7c00, v4, vcc_lo
	v_cmp_eq_u32_e32 vcc_lo, 0x40f, v8
	v_cndmask_b32_e32 v2, v9, v2, vcc_lo
	v_cmp_eq_u32_e32 vcc_lo, 0x40f, v10
	v_and_or_b32 v2, 0x8000, v5, v2
	v_cndmask_b32_e32 v4, v4, v6, vcc_lo
	v_add_co_u32 v0, vcc_lo, v0, s4
	v_add_co_ci_u32_e32 v1, vcc_lo, s3, v1, vcc_lo
	v_and_or_b32 v4, 0x8000, v7, v4
	v_and_b32_e32 v2, 0xffff, v2
	v_lshl_or_b32 v2, v4, 16, v2
	v_lshrrev_b32_e32 v4, 16, v3
	global_store_dword v[0:1], v2, off
	global_load_dword v2, v39, s[8:9] offset:936
	s_waitcnt vmcnt(0)
	v_mul_f16_sdwa v5, v4, v2 dst_sel:DWORD dst_unused:UNUSED_PAD src0_sel:DWORD src1_sel:WORD_1
	v_mul_f16_sdwa v6, v3, v2 dst_sel:DWORD dst_unused:UNUSED_PAD src0_sel:DWORD src1_sel:WORD_1
	v_fmac_f16_e32 v5, v3, v2
	v_fma_f16 v2, v2, v4, -v6
	v_cvt_f32_f16_e32 v3, v5
	v_cvt_f32_f16_e32 v4, v2
	v_cvt_f64_f32_e32 v[2:3], v3
	v_cvt_f64_f32_e32 v[4:5], v4
	v_mul_f64 v[2:3], v[2:3], s[12:13]
	v_mul_f64 v[4:5], v[4:5], s[12:13]
	v_and_or_b32 v2, 0x1ff, v3, v2
	v_and_or_b32 v4, 0x1ff, v5, v4
	v_lshrrev_b32_e32 v6, 8, v3
	v_bfe_u32 v7, v3, 20, 11
	v_lshrrev_b32_e32 v8, 8, v5
	v_cmp_ne_u32_e32 vcc_lo, 0, v2
	v_bfe_u32 v9, v5, 20, 11
	v_lshrrev_b32_e32 v3, 16, v3
	v_sub_nc_u32_e32 v10, 0x3f1, v7
	v_add_nc_u32_e32 v7, 0xfffffc10, v7
	v_cndmask_b32_e64 v2, 0, 1, vcc_lo
	v_cmp_ne_u32_e32 vcc_lo, 0, v4
	v_lshrrev_b32_e32 v5, 16, v5
	v_and_or_b32 v2, 0xffe, v6, v2
	v_cndmask_b32_e64 v4, 0, 1, vcc_lo
	v_sub_nc_u32_e32 v6, 0x3f1, v9
	v_add_nc_u32_e32 v9, 0xfffffc10, v9
	v_and_or_b32 v4, 0xffe, v8, v4
	v_med3_i32 v8, v10, 0, 13
	v_or_b32_e32 v10, 0x1000, v2
	v_med3_i32 v6, v6, 0, 13
	v_or_b32_e32 v11, 0x1000, v4
	v_lshrrev_b32_e32 v12, v8, v10
	v_lshrrev_b32_e32 v13, v6, v11
	v_lshlrev_b32_e32 v8, v8, v12
	v_lshlrev_b32_e32 v6, v6, v13
	v_cmp_ne_u32_e32 vcc_lo, v8, v10
	v_lshl_or_b32 v10, v7, 12, v2
	v_cndmask_b32_e64 v8, 0, 1, vcc_lo
	v_cmp_ne_u32_e32 vcc_lo, v6, v11
	v_lshl_or_b32 v11, v9, 12, v4
	v_or_b32_e32 v8, v12, v8
	v_cndmask_b32_e64 v6, 0, 1, vcc_lo
	v_cmp_gt_i32_e32 vcc_lo, 1, v7
	v_or_b32_e32 v6, v13, v6
	v_cndmask_b32_e32 v8, v10, v8, vcc_lo
	v_cmp_gt_i32_e32 vcc_lo, 1, v9
	v_and_b32_e32 v10, 7, v8
	v_cndmask_b32_e32 v6, v11, v6, vcc_lo
	v_cmp_ne_u32_e32 vcc_lo, 0, v2
	v_lshrrev_b32_e32 v8, 2, v8
	v_cmp_eq_u32_e64 s0, 3, v10
	v_and_b32_e32 v11, 7, v6
	v_cndmask_b32_e64 v2, 0, 1, vcc_lo
	v_cmp_ne_u32_e32 vcc_lo, 0, v4
	v_lshrrev_b32_e32 v6, 2, v6
	v_cmp_lt_i32_e64 s1, 5, v11
	v_cmp_eq_u32_e64 s2, 3, v11
	v_cndmask_b32_e64 v4, 0, 1, vcc_lo
	v_cmp_lt_i32_e32 vcc_lo, 5, v10
	v_lshl_or_b32 v2, v2, 9, 0x7c00
	v_lshl_or_b32 v4, v4, 9, 0x7c00
	s_or_b32 vcc_lo, s0, vcc_lo
	v_add_co_ci_u32_e32 v8, vcc_lo, 0, v8, vcc_lo
	s_or_b32 vcc_lo, s2, s1
	v_add_co_ci_u32_e32 v6, vcc_lo, 0, v6, vcc_lo
	v_cmp_gt_i32_e32 vcc_lo, 31, v7
	v_cndmask_b32_e32 v8, 0x7c00, v8, vcc_lo
	v_cmp_gt_i32_e32 vcc_lo, 31, v9
	v_cndmask_b32_e32 v6, 0x7c00, v6, vcc_lo
	v_cmp_eq_u32_e32 vcc_lo, 0x40f, v7
	v_cndmask_b32_e32 v2, v8, v2, vcc_lo
	v_cmp_eq_u32_e32 vcc_lo, 0x40f, v9
	v_and_or_b32 v2, 0x8000, v3, v2
	v_cndmask_b32_e32 v4, v6, v4, vcc_lo
	v_and_or_b32 v4, 0x8000, v5, v4
	v_and_b32_e32 v5, 0xffff, v2
	v_add_co_u32 v2, vcc_lo, v0, s4
	v_add_co_ci_u32_e32 v3, vcc_lo, s3, v1, vcc_lo
	v_lshl_or_b32 v0, v4, 16, v5
	global_store_dword v[2:3], v0, off
	global_load_dword v1, v39, s[8:9] offset:1092
	v_add_nc_u32_e32 v0, 0x400, v39
	ds_read2_b32 v[4:5], v0 offset0:17 offset1:56
	s_waitcnt lgkmcnt(0)
	v_lshrrev_b32_e32 v6, 16, v4
	s_waitcnt vmcnt(0)
	v_mul_f16_sdwa v7, v6, v1 dst_sel:DWORD dst_unused:UNUSED_PAD src0_sel:DWORD src1_sel:WORD_1
	v_mul_f16_sdwa v8, v4, v1 dst_sel:DWORD dst_unused:UNUSED_PAD src0_sel:DWORD src1_sel:WORD_1
	v_fmac_f16_e32 v7, v4, v1
	v_fma_f16 v1, v1, v6, -v8
	v_cvt_f32_f16_e32 v4, v7
	v_cvt_f32_f16_e32 v1, v1
	v_cvt_f64_f32_e32 v[6:7], v4
	v_cvt_f64_f32_e32 v[8:9], v1
	v_mul_f64 v[6:7], v[6:7], s[12:13]
	v_mul_f64 v[8:9], v[8:9], s[12:13]
	v_and_or_b32 v1, 0x1ff, v7, v6
	v_and_or_b32 v8, 0x1ff, v9, v8
	v_lshrrev_b32_e32 v4, 8, v7
	v_bfe_u32 v6, v7, 20, 11
	v_lshrrev_b32_e32 v10, 8, v9
	v_cmp_ne_u32_e32 vcc_lo, 0, v1
	v_bfe_u32 v11, v9, 20, 11
	v_lshrrev_b32_e32 v7, 16, v7
	v_sub_nc_u32_e32 v12, 0x3f1, v6
	v_add_nc_u32_e32 v6, 0xfffffc10, v6
	v_cndmask_b32_e64 v1, 0, 1, vcc_lo
	v_cmp_ne_u32_e32 vcc_lo, 0, v8
	v_and_or_b32 v1, 0xffe, v4, v1
	v_cndmask_b32_e64 v8, 0, 1, vcc_lo
	v_sub_nc_u32_e32 v4, 0x3f1, v11
	v_add_nc_u32_e32 v11, 0xfffffc10, v11
	v_and_or_b32 v8, 0xffe, v10, v8
	v_med3_i32 v10, v12, 0, 13
	v_or_b32_e32 v12, 0x1000, v1
	v_med3_i32 v4, v4, 0, 13
	v_or_b32_e32 v13, 0x1000, v8
	v_lshrrev_b32_e32 v14, v10, v12
	v_lshrrev_b32_e32 v15, v4, v13
	v_lshlrev_b32_e32 v10, v10, v14
	v_lshlrev_b32_e32 v4, v4, v15
	v_cmp_ne_u32_e32 vcc_lo, v10, v12
	v_lshl_or_b32 v12, v6, 12, v1
	v_cndmask_b32_e64 v10, 0, 1, vcc_lo
	v_cmp_ne_u32_e32 vcc_lo, v4, v13
	v_lshl_or_b32 v13, v11, 12, v8
	v_or_b32_e32 v10, v14, v10
	v_cndmask_b32_e64 v4, 0, 1, vcc_lo
	v_cmp_gt_i32_e32 vcc_lo, 1, v6
	v_or_b32_e32 v4, v15, v4
	v_cndmask_b32_e32 v10, v12, v10, vcc_lo
	v_cmp_gt_i32_e32 vcc_lo, 1, v11
	v_and_b32_e32 v12, 7, v10
	v_cndmask_b32_e32 v4, v13, v4, vcc_lo
	v_cmp_ne_u32_e32 vcc_lo, 0, v1
	v_lshrrev_b32_e32 v10, 2, v10
	v_cmp_eq_u32_e64 s0, 3, v12
	v_and_b32_e32 v13, 7, v4
	v_cndmask_b32_e64 v1, 0, 1, vcc_lo
	v_cmp_ne_u32_e32 vcc_lo, 0, v8
	v_lshrrev_b32_e32 v4, 2, v4
	v_cmp_lt_i32_e64 s1, 5, v13
	v_cmp_eq_u32_e64 s2, 3, v13
	v_cndmask_b32_e64 v8, 0, 1, vcc_lo
	v_cmp_lt_i32_e32 vcc_lo, 5, v12
	v_lshl_or_b32 v1, v1, 9, 0x7c00
	v_lshl_or_b32 v8, v8, 9, 0x7c00
	s_or_b32 vcc_lo, s0, vcc_lo
	v_add_co_ci_u32_e32 v10, vcc_lo, 0, v10, vcc_lo
	s_or_b32 vcc_lo, s2, s1
	v_add_co_ci_u32_e32 v4, vcc_lo, 0, v4, vcc_lo
	v_cmp_gt_i32_e32 vcc_lo, 31, v6
	v_cndmask_b32_e32 v10, 0x7c00, v10, vcc_lo
	v_cmp_gt_i32_e32 vcc_lo, 31, v11
	v_cndmask_b32_e32 v4, 0x7c00, v4, vcc_lo
	v_cmp_eq_u32_e32 vcc_lo, 0x40f, v6
	v_lshrrev_b32_e32 v6, 16, v9
	v_cndmask_b32_e32 v1, v10, v1, vcc_lo
	v_cmp_eq_u32_e32 vcc_lo, 0x40f, v11
	v_and_or_b32 v1, 0x8000, v7, v1
	v_cndmask_b32_e32 v4, v4, v8, vcc_lo
	v_and_or_b32 v4, 0x8000, v6, v4
	v_and_b32_e32 v6, 0xffff, v1
	v_add_co_u32 v1, vcc_lo, v2, s4
	v_add_co_ci_u32_e32 v2, vcc_lo, s3, v3, vcc_lo
	v_lshl_or_b32 v3, v4, 16, v6
	v_lshrrev_b32_e32 v4, 16, v5
	global_store_dword v[1:2], v3, off
	global_load_dword v3, v39, s[8:9] offset:1248
	s_waitcnt vmcnt(0)
	v_mul_f16_sdwa v6, v4, v3 dst_sel:DWORD dst_unused:UNUSED_PAD src0_sel:DWORD src1_sel:WORD_1
	v_mul_f16_sdwa v7, v5, v3 dst_sel:DWORD dst_unused:UNUSED_PAD src0_sel:DWORD src1_sel:WORD_1
	v_fmac_f16_e32 v6, v5, v3
	v_fma_f16 v3, v3, v4, -v7
	v_cvt_f32_f16_e32 v4, v6
	v_cvt_f32_f16_e32 v5, v3
	v_cvt_f64_f32_e32 v[3:4], v4
	v_cvt_f64_f32_e32 v[5:6], v5
	v_mul_f64 v[3:4], v[3:4], s[12:13]
	v_mul_f64 v[5:6], v[5:6], s[12:13]
	v_and_or_b32 v3, 0x1ff, v4, v3
	v_and_or_b32 v5, 0x1ff, v6, v5
	v_lshrrev_b32_e32 v7, 8, v4
	v_bfe_u32 v8, v4, 20, 11
	v_lshrrev_b32_e32 v9, 8, v6
	v_cmp_ne_u32_e32 vcc_lo, 0, v3
	v_bfe_u32 v10, v6, 20, 11
	v_lshrrev_b32_e32 v4, 16, v4
	v_sub_nc_u32_e32 v11, 0x3f1, v8
	v_add_nc_u32_e32 v8, 0xfffffc10, v8
	v_cndmask_b32_e64 v3, 0, 1, vcc_lo
	v_cmp_ne_u32_e32 vcc_lo, 0, v5
	v_lshrrev_b32_e32 v6, 16, v6
	v_and_or_b32 v3, 0xffe, v7, v3
	v_cndmask_b32_e64 v5, 0, 1, vcc_lo
	v_sub_nc_u32_e32 v7, 0x3f1, v10
	v_add_nc_u32_e32 v10, 0xfffffc10, v10
	v_and_or_b32 v5, 0xffe, v9, v5
	v_med3_i32 v9, v11, 0, 13
	v_or_b32_e32 v11, 0x1000, v3
	v_med3_i32 v7, v7, 0, 13
	v_or_b32_e32 v12, 0x1000, v5
	v_lshrrev_b32_e32 v13, v9, v11
	v_lshrrev_b32_e32 v14, v7, v12
	v_lshlrev_b32_e32 v9, v9, v13
	v_lshlrev_b32_e32 v7, v7, v14
	v_cmp_ne_u32_e32 vcc_lo, v9, v11
	v_lshl_or_b32 v11, v8, 12, v3
	v_cndmask_b32_e64 v9, 0, 1, vcc_lo
	v_cmp_ne_u32_e32 vcc_lo, v7, v12
	v_lshl_or_b32 v12, v10, 12, v5
	v_or_b32_e32 v9, v13, v9
	v_cndmask_b32_e64 v7, 0, 1, vcc_lo
	v_cmp_gt_i32_e32 vcc_lo, 1, v8
	v_or_b32_e32 v7, v14, v7
	v_cndmask_b32_e32 v9, v11, v9, vcc_lo
	v_cmp_gt_i32_e32 vcc_lo, 1, v10
	v_and_b32_e32 v11, 7, v9
	v_cndmask_b32_e32 v7, v12, v7, vcc_lo
	v_cmp_ne_u32_e32 vcc_lo, 0, v3
	v_lshrrev_b32_e32 v9, 2, v9
	v_cmp_eq_u32_e64 s0, 3, v11
	v_and_b32_e32 v12, 7, v7
	v_cndmask_b32_e64 v3, 0, 1, vcc_lo
	v_cmp_ne_u32_e32 vcc_lo, 0, v5
	v_lshrrev_b32_e32 v7, 2, v7
	v_cmp_lt_i32_e64 s1, 5, v12
	v_cmp_eq_u32_e64 s2, 3, v12
	v_cndmask_b32_e64 v5, 0, 1, vcc_lo
	v_cmp_lt_i32_e32 vcc_lo, 5, v11
	v_lshl_or_b32 v3, v3, 9, 0x7c00
	v_lshl_or_b32 v5, v5, 9, 0x7c00
	s_or_b32 vcc_lo, s0, vcc_lo
	v_add_co_ci_u32_e32 v9, vcc_lo, 0, v9, vcc_lo
	s_or_b32 vcc_lo, s2, s1
	v_add_co_ci_u32_e32 v7, vcc_lo, 0, v7, vcc_lo
	v_cmp_gt_i32_e32 vcc_lo, 31, v8
	v_cndmask_b32_e32 v9, 0x7c00, v9, vcc_lo
	v_cmp_gt_i32_e32 vcc_lo, 31, v10
	v_cndmask_b32_e32 v7, 0x7c00, v7, vcc_lo
	v_cmp_eq_u32_e32 vcc_lo, 0x40f, v8
	v_cndmask_b32_e32 v3, v9, v3, vcc_lo
	v_cmp_eq_u32_e32 vcc_lo, 0x40f, v10
	v_and_or_b32 v3, 0x8000, v4, v3
	v_cndmask_b32_e32 v5, v7, v5, vcc_lo
	v_add_co_u32 v1, vcc_lo, v1, s4
	v_add_co_ci_u32_e32 v2, vcc_lo, s3, v2, vcc_lo
	v_and_or_b32 v4, 0x8000, v6, v5
	v_and_b32_e32 v3, 0xffff, v3
	v_lshl_or_b32 v3, v4, 16, v3
	global_store_dword v[1:2], v3, off
	global_load_dword v5, v39, s[8:9] offset:1404
	ds_read2_b32 v[3:4], v0 offset0:95 offset1:134
	s_waitcnt lgkmcnt(0)
	v_lshrrev_b32_e32 v6, 16, v3
	s_waitcnt vmcnt(0)
	v_mul_f16_sdwa v7, v6, v5 dst_sel:DWORD dst_unused:UNUSED_PAD src0_sel:DWORD src1_sel:WORD_1
	v_mul_f16_sdwa v8, v3, v5 dst_sel:DWORD dst_unused:UNUSED_PAD src0_sel:DWORD src1_sel:WORD_1
	v_fmac_f16_e32 v7, v3, v5
	v_fma_f16 v3, v5, v6, -v8
	v_cvt_f32_f16_e32 v5, v7
	v_cvt_f32_f16_e32 v3, v3
	v_cvt_f64_f32_e32 v[5:6], v5
	v_cvt_f64_f32_e32 v[7:8], v3
	v_mul_f64 v[5:6], v[5:6], s[12:13]
	v_mul_f64 v[7:8], v[7:8], s[12:13]
	v_and_or_b32 v3, 0x1ff, v6, v5
	v_and_or_b32 v7, 0x1ff, v8, v7
	v_lshrrev_b32_e32 v5, 8, v6
	v_bfe_u32 v9, v6, 20, 11
	v_lshrrev_b32_e32 v10, 8, v8
	v_cmp_ne_u32_e32 vcc_lo, 0, v3
	v_bfe_u32 v11, v8, 20, 11
	v_lshrrev_b32_e32 v6, 16, v6
	v_sub_nc_u32_e32 v12, 0x3f1, v9
	v_add_nc_u32_e32 v9, 0xfffffc10, v9
	v_cndmask_b32_e64 v3, 0, 1, vcc_lo
	v_cmp_ne_u32_e32 vcc_lo, 0, v7
	v_lshrrev_b32_e32 v8, 16, v8
	v_and_or_b32 v3, 0xffe, v5, v3
	v_cndmask_b32_e64 v7, 0, 1, vcc_lo
	v_sub_nc_u32_e32 v5, 0x3f1, v11
	v_add_nc_u32_e32 v11, 0xfffffc10, v11
	v_and_or_b32 v7, 0xffe, v10, v7
	v_med3_i32 v10, v12, 0, 13
	v_or_b32_e32 v12, 0x1000, v3
	v_med3_i32 v5, v5, 0, 13
	v_or_b32_e32 v13, 0x1000, v7
	v_lshrrev_b32_e32 v14, v10, v12
	v_lshrrev_b32_e32 v15, v5, v13
	v_lshlrev_b32_e32 v10, v10, v14
	v_lshlrev_b32_e32 v5, v5, v15
	v_cmp_ne_u32_e32 vcc_lo, v10, v12
	v_lshl_or_b32 v12, v9, 12, v3
	v_cndmask_b32_e64 v10, 0, 1, vcc_lo
	v_cmp_ne_u32_e32 vcc_lo, v5, v13
	v_lshl_or_b32 v13, v11, 12, v7
	v_or_b32_e32 v10, v14, v10
	v_cndmask_b32_e64 v5, 0, 1, vcc_lo
	v_cmp_gt_i32_e32 vcc_lo, 1, v9
	v_or_b32_e32 v5, v15, v5
	v_cndmask_b32_e32 v10, v12, v10, vcc_lo
	v_cmp_gt_i32_e32 vcc_lo, 1, v11
	v_and_b32_e32 v12, 7, v10
	v_cndmask_b32_e32 v5, v13, v5, vcc_lo
	v_cmp_ne_u32_e32 vcc_lo, 0, v3
	v_lshrrev_b32_e32 v10, 2, v10
	v_cmp_eq_u32_e64 s0, 3, v12
	v_and_b32_e32 v13, 7, v5
	v_cndmask_b32_e64 v3, 0, 1, vcc_lo
	v_cmp_ne_u32_e32 vcc_lo, 0, v7
	v_lshrrev_b32_e32 v5, 2, v5
	v_cmp_lt_i32_e64 s1, 5, v13
	v_cmp_eq_u32_e64 s2, 3, v13
	v_cndmask_b32_e64 v7, 0, 1, vcc_lo
	v_cmp_lt_i32_e32 vcc_lo, 5, v12
	v_lshl_or_b32 v3, v3, 9, 0x7c00
	v_lshl_or_b32 v7, v7, 9, 0x7c00
	s_or_b32 vcc_lo, s0, vcc_lo
	v_add_co_ci_u32_e32 v10, vcc_lo, 0, v10, vcc_lo
	s_or_b32 vcc_lo, s2, s1
	v_add_co_ci_u32_e32 v5, vcc_lo, 0, v5, vcc_lo
	v_cmp_gt_i32_e32 vcc_lo, 31, v9
	v_cndmask_b32_e32 v10, 0x7c00, v10, vcc_lo
	v_cmp_gt_i32_e32 vcc_lo, 31, v11
	v_cndmask_b32_e32 v5, 0x7c00, v5, vcc_lo
	v_cmp_eq_u32_e32 vcc_lo, 0x40f, v9
	v_cndmask_b32_e32 v3, v10, v3, vcc_lo
	v_cmp_eq_u32_e32 vcc_lo, 0x40f, v11
	v_and_or_b32 v3, 0x8000, v6, v3
	v_cndmask_b32_e32 v5, v5, v7, vcc_lo
	v_add_co_u32 v1, vcc_lo, v1, s4
	v_add_co_ci_u32_e32 v2, vcc_lo, s3, v2, vcc_lo
	v_and_or_b32 v5, 0x8000, v8, v5
	v_and_b32_e32 v3, 0xffff, v3
	v_lshl_or_b32 v3, v5, 16, v3
	v_lshrrev_b32_e32 v5, 16, v4
	global_store_dword v[1:2], v3, off
	global_load_dword v3, v39, s[8:9] offset:1560
	s_waitcnt vmcnt(0)
	v_mul_f16_sdwa v6, v5, v3 dst_sel:DWORD dst_unused:UNUSED_PAD src0_sel:DWORD src1_sel:WORD_1
	v_mul_f16_sdwa v7, v4, v3 dst_sel:DWORD dst_unused:UNUSED_PAD src0_sel:DWORD src1_sel:WORD_1
	v_fmac_f16_e32 v6, v4, v3
	v_fma_f16 v3, v3, v5, -v7
	v_cvt_f32_f16_e32 v4, v6
	v_cvt_f32_f16_e32 v5, v3
	v_cvt_f64_f32_e32 v[3:4], v4
	v_cvt_f64_f32_e32 v[5:6], v5
	v_mul_f64 v[3:4], v[3:4], s[12:13]
	v_mul_f64 v[5:6], v[5:6], s[12:13]
	v_and_or_b32 v3, 0x1ff, v4, v3
	v_and_or_b32 v5, 0x1ff, v6, v5
	v_lshrrev_b32_e32 v7, 8, v4
	v_bfe_u32 v8, v4, 20, 11
	v_lshrrev_b32_e32 v9, 8, v6
	v_cmp_ne_u32_e32 vcc_lo, 0, v3
	v_bfe_u32 v10, v6, 20, 11
	v_lshrrev_b32_e32 v4, 16, v4
	v_sub_nc_u32_e32 v11, 0x3f1, v8
	v_add_nc_u32_e32 v8, 0xfffffc10, v8
	v_cndmask_b32_e64 v3, 0, 1, vcc_lo
	v_cmp_ne_u32_e32 vcc_lo, 0, v5
	v_lshrrev_b32_e32 v6, 16, v6
	v_and_or_b32 v3, 0xffe, v7, v3
	v_cndmask_b32_e64 v5, 0, 1, vcc_lo
	v_sub_nc_u32_e32 v7, 0x3f1, v10
	v_add_nc_u32_e32 v10, 0xfffffc10, v10
	v_and_or_b32 v5, 0xffe, v9, v5
	v_med3_i32 v9, v11, 0, 13
	v_or_b32_e32 v11, 0x1000, v3
	v_med3_i32 v7, v7, 0, 13
	v_or_b32_e32 v12, 0x1000, v5
	v_lshrrev_b32_e32 v13, v9, v11
	v_lshrrev_b32_e32 v14, v7, v12
	v_lshlrev_b32_e32 v9, v9, v13
	v_lshlrev_b32_e32 v7, v7, v14
	v_cmp_ne_u32_e32 vcc_lo, v9, v11
	v_lshl_or_b32 v11, v8, 12, v3
	v_cndmask_b32_e64 v9, 0, 1, vcc_lo
	v_cmp_ne_u32_e32 vcc_lo, v7, v12
	v_lshl_or_b32 v12, v10, 12, v5
	v_or_b32_e32 v9, v13, v9
	v_cndmask_b32_e64 v7, 0, 1, vcc_lo
	v_cmp_gt_i32_e32 vcc_lo, 1, v8
	v_or_b32_e32 v7, v14, v7
	v_cndmask_b32_e32 v9, v11, v9, vcc_lo
	v_cmp_gt_i32_e32 vcc_lo, 1, v10
	v_and_b32_e32 v11, 7, v9
	v_cndmask_b32_e32 v7, v12, v7, vcc_lo
	v_cmp_ne_u32_e32 vcc_lo, 0, v3
	v_lshrrev_b32_e32 v9, 2, v9
	v_cmp_eq_u32_e64 s0, 3, v11
	v_and_b32_e32 v12, 7, v7
	v_cndmask_b32_e64 v3, 0, 1, vcc_lo
	v_cmp_ne_u32_e32 vcc_lo, 0, v5
	v_lshrrev_b32_e32 v7, 2, v7
	v_cmp_lt_i32_e64 s1, 5, v12
	v_cmp_eq_u32_e64 s2, 3, v12
	v_cndmask_b32_e64 v5, 0, 1, vcc_lo
	v_cmp_lt_i32_e32 vcc_lo, 5, v11
	v_lshl_or_b32 v3, v3, 9, 0x7c00
	v_lshl_or_b32 v5, v5, 9, 0x7c00
	s_or_b32 vcc_lo, s0, vcc_lo
	v_add_co_ci_u32_e32 v9, vcc_lo, 0, v9, vcc_lo
	s_or_b32 vcc_lo, s2, s1
	v_add_co_ci_u32_e32 v7, vcc_lo, 0, v7, vcc_lo
	v_cmp_gt_i32_e32 vcc_lo, 31, v8
	v_cndmask_b32_e32 v9, 0x7c00, v9, vcc_lo
	v_cmp_gt_i32_e32 vcc_lo, 31, v10
	v_cndmask_b32_e32 v7, 0x7c00, v7, vcc_lo
	v_cmp_eq_u32_e32 vcc_lo, 0x40f, v8
	v_cndmask_b32_e32 v3, v9, v3, vcc_lo
	v_cmp_eq_u32_e32 vcc_lo, 0x40f, v10
	v_and_or_b32 v3, 0x8000, v4, v3
	v_cndmask_b32_e32 v5, v7, v5, vcc_lo
	v_add_co_u32 v1, vcc_lo, v1, s4
	v_add_co_ci_u32_e32 v2, vcc_lo, s3, v2, vcc_lo
	v_and_or_b32 v4, 0x8000, v6, v5
	v_and_b32_e32 v3, 0xffff, v3
	v_lshl_or_b32 v3, v4, 16, v3
	global_store_dword v[1:2], v3, off
	global_load_dword v5, v39, s[8:9] offset:1716
	ds_read2_b32 v[3:4], v0 offset0:173 offset1:212
	s_waitcnt lgkmcnt(0)
	v_lshrrev_b32_e32 v0, 16, v3
	s_waitcnt vmcnt(0)
	v_mul_f16_sdwa v6, v0, v5 dst_sel:DWORD dst_unused:UNUSED_PAD src0_sel:DWORD src1_sel:WORD_1
	v_mul_f16_sdwa v7, v3, v5 dst_sel:DWORD dst_unused:UNUSED_PAD src0_sel:DWORD src1_sel:WORD_1
	v_fmac_f16_e32 v6, v3, v5
	v_fma_f16 v0, v5, v0, -v7
	v_cvt_f32_f16_e32 v3, v6
	v_cvt_f32_f16_e32 v0, v0
	v_cvt_f64_f32_e32 v[5:6], v3
	v_cvt_f64_f32_e32 v[7:8], v0
	v_mul_f64 v[5:6], v[5:6], s[12:13]
	v_mul_f64 v[7:8], v[7:8], s[12:13]
	v_and_or_b32 v0, 0x1ff, v6, v5
	v_and_or_b32 v7, 0x1ff, v8, v7
	v_lshrrev_b32_e32 v3, 8, v6
	v_bfe_u32 v5, v6, 20, 11
	v_lshrrev_b32_e32 v9, 8, v8
	v_cmp_ne_u32_e32 vcc_lo, 0, v0
	v_bfe_u32 v10, v8, 20, 11
	v_lshrrev_b32_e32 v6, 16, v6
	v_sub_nc_u32_e32 v11, 0x3f1, v5
	v_add_nc_u32_e32 v5, 0xfffffc10, v5
	v_cndmask_b32_e64 v0, 0, 1, vcc_lo
	v_cmp_ne_u32_e32 vcc_lo, 0, v7
	v_and_or_b32 v0, 0xffe, v3, v0
	v_cndmask_b32_e64 v7, 0, 1, vcc_lo
	v_sub_nc_u32_e32 v3, 0x3f1, v10
	v_add_nc_u32_e32 v10, 0xfffffc10, v10
	v_and_or_b32 v7, 0xffe, v9, v7
	v_med3_i32 v9, v11, 0, 13
	v_or_b32_e32 v11, 0x1000, v0
	v_med3_i32 v3, v3, 0, 13
	v_or_b32_e32 v12, 0x1000, v7
	v_lshrrev_b32_e32 v13, v9, v11
	v_lshrrev_b32_e32 v14, v3, v12
	v_lshlrev_b32_e32 v9, v9, v13
	v_lshlrev_b32_e32 v3, v3, v14
	v_cmp_ne_u32_e32 vcc_lo, v9, v11
	v_lshl_or_b32 v11, v5, 12, v0
	v_cndmask_b32_e64 v9, 0, 1, vcc_lo
	v_cmp_ne_u32_e32 vcc_lo, v3, v12
	v_lshl_or_b32 v12, v10, 12, v7
	v_or_b32_e32 v9, v13, v9
	v_cndmask_b32_e64 v3, 0, 1, vcc_lo
	v_cmp_gt_i32_e32 vcc_lo, 1, v5
	v_or_b32_e32 v3, v14, v3
	v_cndmask_b32_e32 v9, v11, v9, vcc_lo
	v_cmp_gt_i32_e32 vcc_lo, 1, v10
	v_and_b32_e32 v11, 7, v9
	v_cndmask_b32_e32 v3, v12, v3, vcc_lo
	v_cmp_ne_u32_e32 vcc_lo, 0, v0
	v_lshrrev_b32_e32 v9, 2, v9
	v_cmp_eq_u32_e64 s0, 3, v11
	v_and_b32_e32 v12, 7, v3
	v_cndmask_b32_e64 v0, 0, 1, vcc_lo
	v_cmp_ne_u32_e32 vcc_lo, 0, v7
	v_lshrrev_b32_e32 v3, 2, v3
	v_cmp_lt_i32_e64 s1, 5, v12
	v_cmp_eq_u32_e64 s2, 3, v12
	v_cndmask_b32_e64 v7, 0, 1, vcc_lo
	v_cmp_lt_i32_e32 vcc_lo, 5, v11
	v_lshl_or_b32 v0, v0, 9, 0x7c00
	v_lshl_or_b32 v7, v7, 9, 0x7c00
	s_or_b32 vcc_lo, s0, vcc_lo
	v_add_co_ci_u32_e32 v9, vcc_lo, 0, v9, vcc_lo
	s_or_b32 vcc_lo, s2, s1
	v_add_co_ci_u32_e32 v3, vcc_lo, 0, v3, vcc_lo
	v_cmp_gt_i32_e32 vcc_lo, 31, v5
	v_cndmask_b32_e32 v9, 0x7c00, v9, vcc_lo
	v_cmp_gt_i32_e32 vcc_lo, 31, v10
	v_cndmask_b32_e32 v3, 0x7c00, v3, vcc_lo
	v_cmp_eq_u32_e32 vcc_lo, 0x40f, v5
	v_lshrrev_b32_e32 v5, 16, v8
	v_cndmask_b32_e32 v0, v9, v0, vcc_lo
	v_cmp_eq_u32_e32 vcc_lo, 0x40f, v10
	v_and_or_b32 v0, 0x8000, v6, v0
	v_cndmask_b32_e32 v3, v3, v7, vcc_lo
	v_and_or_b32 v3, 0x8000, v5, v3
	v_and_b32_e32 v5, 0xffff, v0
	v_add_co_u32 v0, vcc_lo, v1, s4
	v_add_co_ci_u32_e32 v1, vcc_lo, s3, v2, vcc_lo
	v_lshl_or_b32 v2, v3, 16, v5
	v_lshrrev_b32_e32 v3, 16, v4
	global_store_dword v[0:1], v2, off
	global_load_dword v2, v39, s[8:9] offset:1872
	s_waitcnt vmcnt(0)
	v_mul_f16_sdwa v5, v3, v2 dst_sel:DWORD dst_unused:UNUSED_PAD src0_sel:DWORD src1_sel:WORD_1
	v_mul_f16_sdwa v6, v4, v2 dst_sel:DWORD dst_unused:UNUSED_PAD src0_sel:DWORD src1_sel:WORD_1
	v_fmac_f16_e32 v5, v4, v2
	v_fma_f16 v2, v2, v3, -v6
	v_cvt_f32_f16_e32 v3, v5
	v_cvt_f32_f16_e32 v4, v2
	v_cvt_f64_f32_e32 v[2:3], v3
	v_cvt_f64_f32_e32 v[4:5], v4
	v_mul_f64 v[2:3], v[2:3], s[12:13]
	v_mul_f64 v[4:5], v[4:5], s[12:13]
	v_and_or_b32 v2, 0x1ff, v3, v2
	v_and_or_b32 v4, 0x1ff, v5, v4
	v_lshrrev_b32_e32 v6, 8, v3
	v_bfe_u32 v7, v3, 20, 11
	v_lshrrev_b32_e32 v8, 8, v5
	v_cmp_ne_u32_e32 vcc_lo, 0, v2
	v_bfe_u32 v9, v5, 20, 11
	v_lshrrev_b32_e32 v3, 16, v3
	v_sub_nc_u32_e32 v10, 0x3f1, v7
	v_add_nc_u32_e32 v7, 0xfffffc10, v7
	v_cndmask_b32_e64 v2, 0, 1, vcc_lo
	v_cmp_ne_u32_e32 vcc_lo, 0, v4
	v_lshrrev_b32_e32 v5, 16, v5
	v_and_or_b32 v2, 0xffe, v6, v2
	v_cndmask_b32_e64 v4, 0, 1, vcc_lo
	v_sub_nc_u32_e32 v6, 0x3f1, v9
	v_add_nc_u32_e32 v9, 0xfffffc10, v9
	v_and_or_b32 v4, 0xffe, v8, v4
	v_med3_i32 v8, v10, 0, 13
	v_or_b32_e32 v10, 0x1000, v2
	v_med3_i32 v6, v6, 0, 13
	v_or_b32_e32 v11, 0x1000, v4
	v_lshrrev_b32_e32 v12, v8, v10
	v_lshrrev_b32_e32 v13, v6, v11
	v_lshlrev_b32_e32 v8, v8, v12
	v_lshlrev_b32_e32 v6, v6, v13
	v_cmp_ne_u32_e32 vcc_lo, v8, v10
	v_lshl_or_b32 v10, v7, 12, v2
	v_cndmask_b32_e64 v8, 0, 1, vcc_lo
	v_cmp_ne_u32_e32 vcc_lo, v6, v11
	v_lshl_or_b32 v11, v9, 12, v4
	v_or_b32_e32 v8, v12, v8
	v_cndmask_b32_e64 v6, 0, 1, vcc_lo
	v_cmp_gt_i32_e32 vcc_lo, 1, v7
	v_or_b32_e32 v6, v13, v6
	v_cndmask_b32_e32 v8, v10, v8, vcc_lo
	v_cmp_gt_i32_e32 vcc_lo, 1, v9
	v_and_b32_e32 v10, 7, v8
	v_cndmask_b32_e32 v6, v11, v6, vcc_lo
	v_cmp_ne_u32_e32 vcc_lo, 0, v2
	v_lshrrev_b32_e32 v8, 2, v8
	v_cmp_eq_u32_e64 s0, 3, v10
	v_and_b32_e32 v11, 7, v6
	v_cndmask_b32_e64 v2, 0, 1, vcc_lo
	v_cmp_ne_u32_e32 vcc_lo, 0, v4
	v_lshrrev_b32_e32 v6, 2, v6
	v_cmp_lt_i32_e64 s1, 5, v11
	v_cmp_eq_u32_e64 s2, 3, v11
	v_cndmask_b32_e64 v4, 0, 1, vcc_lo
	v_cmp_lt_i32_e32 vcc_lo, 5, v10
	v_lshl_or_b32 v2, v2, 9, 0x7c00
	v_lshl_or_b32 v4, v4, 9, 0x7c00
	s_or_b32 vcc_lo, s0, vcc_lo
	v_add_co_ci_u32_e32 v8, vcc_lo, 0, v8, vcc_lo
	s_or_b32 vcc_lo, s2, s1
	v_add_co_ci_u32_e32 v6, vcc_lo, 0, v6, vcc_lo
	v_cmp_gt_i32_e32 vcc_lo, 31, v7
	v_cndmask_b32_e32 v8, 0x7c00, v8, vcc_lo
	v_cmp_gt_i32_e32 vcc_lo, 31, v9
	v_cndmask_b32_e32 v6, 0x7c00, v6, vcc_lo
	v_cmp_eq_u32_e32 vcc_lo, 0x40f, v7
	v_cndmask_b32_e32 v2, v8, v2, vcc_lo
	v_cmp_eq_u32_e32 vcc_lo, 0x40f, v9
	v_and_or_b32 v2, 0x8000, v3, v2
	v_cndmask_b32_e32 v4, v6, v4, vcc_lo
	v_add_co_u32 v0, vcc_lo, v0, s4
	v_add_co_ci_u32_e32 v1, vcc_lo, s3, v1, vcc_lo
	v_and_or_b32 v3, 0x8000, v5, v4
	v_and_b32_e32 v2, 0xffff, v2
	v_lshl_or_b32 v2, v3, 16, v2
	global_store_dword v[0:1], v2, off
	global_load_dword v4, v39, s[8:9] offset:2028
	v_add_nc_u32_e32 v2, 0x600, v39
	ds_read2_b32 v[2:3], v2 offset0:123 offset1:162
	s_waitcnt lgkmcnt(0)
	v_lshrrev_b32_e32 v5, 16, v2
	s_waitcnt vmcnt(0)
	v_mul_f16_sdwa v6, v5, v4 dst_sel:DWORD dst_unused:UNUSED_PAD src0_sel:DWORD src1_sel:WORD_1
	v_mul_f16_sdwa v7, v2, v4 dst_sel:DWORD dst_unused:UNUSED_PAD src0_sel:DWORD src1_sel:WORD_1
	v_fmac_f16_e32 v6, v2, v4
	v_fma_f16 v2, v4, v5, -v7
	v_cvt_f32_f16_e32 v4, v6
	v_cvt_f32_f16_e32 v2, v2
	v_cvt_f64_f32_e32 v[4:5], v4
	v_cvt_f64_f32_e32 v[6:7], v2
	v_mul_f64 v[4:5], v[4:5], s[12:13]
	v_mul_f64 v[6:7], v[6:7], s[12:13]
	v_and_or_b32 v2, 0x1ff, v5, v4
	v_and_or_b32 v6, 0x1ff, v7, v6
	v_lshrrev_b32_e32 v4, 8, v5
	v_bfe_u32 v8, v5, 20, 11
	v_lshrrev_b32_e32 v9, 8, v7
	v_cmp_ne_u32_e32 vcc_lo, 0, v2
	v_bfe_u32 v10, v7, 20, 11
	v_lshrrev_b32_e32 v5, 16, v5
	v_sub_nc_u32_e32 v11, 0x3f1, v8
	v_add_nc_u32_e32 v8, 0xfffffc10, v8
	v_cndmask_b32_e64 v2, 0, 1, vcc_lo
	v_cmp_ne_u32_e32 vcc_lo, 0, v6
	v_lshrrev_b32_e32 v7, 16, v7
	v_and_or_b32 v2, 0xffe, v4, v2
	v_cndmask_b32_e64 v6, 0, 1, vcc_lo
	v_sub_nc_u32_e32 v4, 0x3f1, v10
	v_add_nc_u32_e32 v10, 0xfffffc10, v10
	v_and_or_b32 v6, 0xffe, v9, v6
	v_med3_i32 v9, v11, 0, 13
	v_or_b32_e32 v11, 0x1000, v2
	v_med3_i32 v4, v4, 0, 13
	v_or_b32_e32 v12, 0x1000, v6
	v_lshrrev_b32_e32 v13, v9, v11
	v_lshrrev_b32_e32 v14, v4, v12
	v_lshlrev_b32_e32 v9, v9, v13
	v_lshlrev_b32_e32 v4, v4, v14
	v_cmp_ne_u32_e32 vcc_lo, v9, v11
	v_lshl_or_b32 v11, v8, 12, v2
	v_cndmask_b32_e64 v9, 0, 1, vcc_lo
	v_cmp_ne_u32_e32 vcc_lo, v4, v12
	v_lshl_or_b32 v12, v10, 12, v6
	v_or_b32_e32 v9, v13, v9
	v_cndmask_b32_e64 v4, 0, 1, vcc_lo
	v_cmp_gt_i32_e32 vcc_lo, 1, v8
	v_or_b32_e32 v4, v14, v4
	v_cndmask_b32_e32 v9, v11, v9, vcc_lo
	v_cmp_gt_i32_e32 vcc_lo, 1, v10
	v_and_b32_e32 v11, 7, v9
	v_cndmask_b32_e32 v4, v12, v4, vcc_lo
	v_cmp_ne_u32_e32 vcc_lo, 0, v2
	v_lshrrev_b32_e32 v9, 2, v9
	v_cmp_eq_u32_e64 s0, 3, v11
	v_and_b32_e32 v12, 7, v4
	v_cndmask_b32_e64 v2, 0, 1, vcc_lo
	v_cmp_ne_u32_e32 vcc_lo, 0, v6
	v_lshrrev_b32_e32 v4, 2, v4
	v_cmp_lt_i32_e64 s1, 5, v12
	v_cmp_eq_u32_e64 s2, 3, v12
	v_cndmask_b32_e64 v6, 0, 1, vcc_lo
	v_cmp_lt_i32_e32 vcc_lo, 5, v11
	v_lshl_or_b32 v2, v2, 9, 0x7c00
	v_lshl_or_b32 v6, v6, 9, 0x7c00
	s_or_b32 vcc_lo, s0, vcc_lo
	v_add_co_ci_u32_e32 v9, vcc_lo, 0, v9, vcc_lo
	s_or_b32 vcc_lo, s2, s1
	v_add_co_ci_u32_e32 v4, vcc_lo, 0, v4, vcc_lo
	v_cmp_gt_i32_e32 vcc_lo, 31, v8
	v_cndmask_b32_e32 v9, 0x7c00, v9, vcc_lo
	v_cmp_gt_i32_e32 vcc_lo, 31, v10
	v_cndmask_b32_e32 v4, 0x7c00, v4, vcc_lo
	v_cmp_eq_u32_e32 vcc_lo, 0x40f, v8
	v_cndmask_b32_e32 v2, v9, v2, vcc_lo
	v_cmp_eq_u32_e32 vcc_lo, 0x40f, v10
	v_and_or_b32 v2, 0x8000, v5, v2
	v_cndmask_b32_e32 v4, v4, v6, vcc_lo
	v_add_co_u32 v5, s0, s8, v39
	v_add_co_ci_u32_e64 v6, null, s9, 0, s0
	v_and_or_b32 v4, 0x8000, v7, v4
	v_and_b32_e32 v2, 0xffff, v2
	v_add_co_u32 v0, vcc_lo, v0, s4
	v_add_co_ci_u32_e32 v1, vcc_lo, s3, v1, vcc_lo
	v_lshl_or_b32 v2, v4, 16, v2
	v_add_co_u32 v4, vcc_lo, 0x800, v5
	v_add_co_ci_u32_e32 v5, vcc_lo, 0, v6, vcc_lo
	global_store_dword v[0:1], v2, off
	v_lshrrev_b32_e32 v6, 16, v3
	global_load_dword v2, v[4:5], off offset:136
	s_waitcnt vmcnt(0)
	v_mul_f16_sdwa v7, v6, v2 dst_sel:DWORD dst_unused:UNUSED_PAD src0_sel:DWORD src1_sel:WORD_1
	v_mul_f16_sdwa v8, v3, v2 dst_sel:DWORD dst_unused:UNUSED_PAD src0_sel:DWORD src1_sel:WORD_1
	v_fmac_f16_e32 v7, v3, v2
	v_fma_f16 v2, v2, v6, -v8
	v_cvt_f32_f16_e32 v3, v7
	v_cvt_f32_f16_e32 v6, v2
	v_cvt_f64_f32_e32 v[2:3], v3
	v_cvt_f64_f32_e32 v[6:7], v6
	v_mul_f64 v[2:3], v[2:3], s[12:13]
	v_mul_f64 v[6:7], v[6:7], s[12:13]
	v_and_or_b32 v2, 0x1ff, v3, v2
	v_and_or_b32 v6, 0x1ff, v7, v6
	v_lshrrev_b32_e32 v8, 8, v3
	v_bfe_u32 v9, v3, 20, 11
	v_lshrrev_b32_e32 v10, 8, v7
	v_cmp_ne_u32_e32 vcc_lo, 0, v2
	v_bfe_u32 v11, v7, 20, 11
	v_lshrrev_b32_e32 v3, 16, v3
	v_sub_nc_u32_e32 v12, 0x3f1, v9
	v_add_nc_u32_e32 v9, 0xfffffc10, v9
	v_cndmask_b32_e64 v2, 0, 1, vcc_lo
	v_cmp_ne_u32_e32 vcc_lo, 0, v6
	v_lshrrev_b32_e32 v7, 16, v7
	v_and_or_b32 v2, 0xffe, v8, v2
	v_cndmask_b32_e64 v6, 0, 1, vcc_lo
	v_sub_nc_u32_e32 v8, 0x3f1, v11
	v_add_nc_u32_e32 v11, 0xfffffc10, v11
	v_and_or_b32 v6, 0xffe, v10, v6
	v_med3_i32 v10, v12, 0, 13
	v_or_b32_e32 v12, 0x1000, v2
	v_med3_i32 v8, v8, 0, 13
	v_or_b32_e32 v13, 0x1000, v6
	v_lshrrev_b32_e32 v14, v10, v12
	v_lshrrev_b32_e32 v15, v8, v13
	v_lshlrev_b32_e32 v10, v10, v14
	v_lshlrev_b32_e32 v8, v8, v15
	v_cmp_ne_u32_e32 vcc_lo, v10, v12
	v_lshl_or_b32 v12, v9, 12, v2
	v_cndmask_b32_e64 v10, 0, 1, vcc_lo
	v_cmp_ne_u32_e32 vcc_lo, v8, v13
	v_lshl_or_b32 v13, v11, 12, v6
	v_or_b32_e32 v10, v14, v10
	v_cndmask_b32_e64 v8, 0, 1, vcc_lo
	v_cmp_gt_i32_e32 vcc_lo, 1, v9
	v_or_b32_e32 v8, v15, v8
	v_cndmask_b32_e32 v10, v12, v10, vcc_lo
	v_cmp_gt_i32_e32 vcc_lo, 1, v11
	v_and_b32_e32 v12, 7, v10
	v_cndmask_b32_e32 v8, v13, v8, vcc_lo
	v_cmp_ne_u32_e32 vcc_lo, 0, v2
	v_lshrrev_b32_e32 v10, 2, v10
	v_cmp_eq_u32_e64 s0, 3, v12
	v_and_b32_e32 v13, 7, v8
	v_cndmask_b32_e64 v2, 0, 1, vcc_lo
	v_cmp_ne_u32_e32 vcc_lo, 0, v6
	v_lshrrev_b32_e32 v8, 2, v8
	v_cmp_lt_i32_e64 s1, 5, v13
	v_cmp_eq_u32_e64 s2, 3, v13
	v_cndmask_b32_e64 v6, 0, 1, vcc_lo
	v_cmp_lt_i32_e32 vcc_lo, 5, v12
	v_lshl_or_b32 v2, v2, 9, 0x7c00
	v_lshl_or_b32 v6, v6, 9, 0x7c00
	s_or_b32 vcc_lo, s0, vcc_lo
	v_add_co_ci_u32_e32 v10, vcc_lo, 0, v10, vcc_lo
	s_or_b32 vcc_lo, s2, s1
	v_add_co_ci_u32_e32 v8, vcc_lo, 0, v8, vcc_lo
	v_cmp_gt_i32_e32 vcc_lo, 31, v9
	v_cndmask_b32_e32 v10, 0x7c00, v10, vcc_lo
	v_cmp_gt_i32_e32 vcc_lo, 31, v11
	v_cndmask_b32_e32 v8, 0x7c00, v8, vcc_lo
	v_cmp_eq_u32_e32 vcc_lo, 0x40f, v9
	v_cndmask_b32_e32 v2, v10, v2, vcc_lo
	v_cmp_eq_u32_e32 vcc_lo, 0x40f, v11
	v_and_or_b32 v2, 0x8000, v3, v2
	v_cndmask_b32_e32 v6, v8, v6, vcc_lo
	v_add_co_u32 v0, vcc_lo, v0, s4
	v_add_co_ci_u32_e32 v1, vcc_lo, s3, v1, vcc_lo
	v_and_or_b32 v3, 0x8000, v7, v6
	v_and_b32_e32 v2, 0xffff, v2
	v_lshl_or_b32 v2, v3, 16, v2
	global_store_dword v[0:1], v2, off
	global_load_dword v6, v[4:5], off offset:292
	v_add_nc_u32_e32 v2, 0x800, v39
	ds_read2_b32 v[2:3], v2 offset0:73 offset1:112
	s_waitcnt lgkmcnt(0)
	v_lshrrev_b32_e32 v7, 16, v2
	s_waitcnt vmcnt(0)
	v_mul_f16_sdwa v8, v7, v6 dst_sel:DWORD dst_unused:UNUSED_PAD src0_sel:DWORD src1_sel:WORD_1
	v_mul_f16_sdwa v9, v2, v6 dst_sel:DWORD dst_unused:UNUSED_PAD src0_sel:DWORD src1_sel:WORD_1
	v_fmac_f16_e32 v8, v2, v6
	v_fma_f16 v2, v6, v7, -v9
	v_cvt_f32_f16_e32 v6, v8
	v_cvt_f32_f16_e32 v2, v2
	v_cvt_f64_f32_e32 v[6:7], v6
	v_cvt_f64_f32_e32 v[8:9], v2
	v_mul_f64 v[6:7], v[6:7], s[12:13]
	v_mul_f64 v[8:9], v[8:9], s[12:13]
	v_and_or_b32 v2, 0x1ff, v7, v6
	v_and_or_b32 v8, 0x1ff, v9, v8
	v_lshrrev_b32_e32 v6, 8, v7
	v_bfe_u32 v10, v7, 20, 11
	v_lshrrev_b32_e32 v11, 8, v9
	v_cmp_ne_u32_e32 vcc_lo, 0, v2
	v_bfe_u32 v12, v9, 20, 11
	v_lshrrev_b32_e32 v7, 16, v7
	v_sub_nc_u32_e32 v13, 0x3f1, v10
	v_add_nc_u32_e32 v10, 0xfffffc10, v10
	v_cndmask_b32_e64 v2, 0, 1, vcc_lo
	v_cmp_ne_u32_e32 vcc_lo, 0, v8
	v_lshrrev_b32_e32 v9, 16, v9
	v_and_or_b32 v2, 0xffe, v6, v2
	v_cndmask_b32_e64 v8, 0, 1, vcc_lo
	v_sub_nc_u32_e32 v6, 0x3f1, v12
	v_add_nc_u32_e32 v12, 0xfffffc10, v12
	v_and_or_b32 v8, 0xffe, v11, v8
	v_med3_i32 v11, v13, 0, 13
	v_or_b32_e32 v13, 0x1000, v2
	v_med3_i32 v6, v6, 0, 13
	v_or_b32_e32 v14, 0x1000, v8
	v_lshrrev_b32_e32 v15, v11, v13
	v_lshrrev_b32_e32 v16, v6, v14
	v_lshlrev_b32_e32 v11, v11, v15
	v_lshlrev_b32_e32 v6, v6, v16
	v_cmp_ne_u32_e32 vcc_lo, v11, v13
	v_lshl_or_b32 v13, v10, 12, v2
	v_cndmask_b32_e64 v11, 0, 1, vcc_lo
	v_cmp_ne_u32_e32 vcc_lo, v6, v14
	v_lshl_or_b32 v14, v12, 12, v8
	v_or_b32_e32 v11, v15, v11
	v_cndmask_b32_e64 v6, 0, 1, vcc_lo
	v_cmp_gt_i32_e32 vcc_lo, 1, v10
	v_or_b32_e32 v6, v16, v6
	v_cndmask_b32_e32 v11, v13, v11, vcc_lo
	v_cmp_gt_i32_e32 vcc_lo, 1, v12
	v_and_b32_e32 v13, 7, v11
	v_cndmask_b32_e32 v6, v14, v6, vcc_lo
	v_cmp_ne_u32_e32 vcc_lo, 0, v2
	v_lshrrev_b32_e32 v11, 2, v11
	v_cmp_eq_u32_e64 s0, 3, v13
	v_and_b32_e32 v14, 7, v6
	v_cndmask_b32_e64 v2, 0, 1, vcc_lo
	v_cmp_ne_u32_e32 vcc_lo, 0, v8
	v_lshrrev_b32_e32 v6, 2, v6
	v_cmp_lt_i32_e64 s1, 5, v14
	v_cmp_eq_u32_e64 s2, 3, v14
	v_cndmask_b32_e64 v8, 0, 1, vcc_lo
	v_cmp_lt_i32_e32 vcc_lo, 5, v13
	v_lshl_or_b32 v2, v2, 9, 0x7c00
	v_lshl_or_b32 v8, v8, 9, 0x7c00
	s_or_b32 vcc_lo, s0, vcc_lo
	v_add_co_ci_u32_e32 v11, vcc_lo, 0, v11, vcc_lo
	s_or_b32 vcc_lo, s2, s1
	v_add_co_ci_u32_e32 v6, vcc_lo, 0, v6, vcc_lo
	v_cmp_gt_i32_e32 vcc_lo, 31, v10
	v_cndmask_b32_e32 v11, 0x7c00, v11, vcc_lo
	v_cmp_gt_i32_e32 vcc_lo, 31, v12
	v_cndmask_b32_e32 v6, 0x7c00, v6, vcc_lo
	v_cmp_eq_u32_e32 vcc_lo, 0x40f, v10
	v_cndmask_b32_e32 v2, v11, v2, vcc_lo
	v_cmp_eq_u32_e32 vcc_lo, 0x40f, v12
	v_and_or_b32 v2, 0x8000, v7, v2
	v_cndmask_b32_e32 v6, v6, v8, vcc_lo
	v_add_co_u32 v0, vcc_lo, v0, s4
	v_add_co_ci_u32_e32 v1, vcc_lo, s3, v1, vcc_lo
	v_and_or_b32 v6, 0x8000, v9, v6
	v_and_b32_e32 v2, 0xffff, v2
	v_lshl_or_b32 v2, v6, 16, v2
	global_store_dword v[0:1], v2, off
	global_load_dword v2, v[4:5], off offset:448
	v_lshrrev_b32_e32 v4, 16, v3
	s_waitcnt vmcnt(0)
	v_mul_f16_sdwa v5, v4, v2 dst_sel:DWORD dst_unused:UNUSED_PAD src0_sel:DWORD src1_sel:WORD_1
	v_mul_f16_sdwa v6, v3, v2 dst_sel:DWORD dst_unused:UNUSED_PAD src0_sel:DWORD src1_sel:WORD_1
	v_fmac_f16_e32 v5, v3, v2
	v_fma_f16 v2, v2, v4, -v6
	v_cvt_f32_f16_e32 v3, v5
	v_cvt_f32_f16_e32 v4, v2
	v_cvt_f64_f32_e32 v[2:3], v3
	v_cvt_f64_f32_e32 v[4:5], v4
	v_mul_f64 v[2:3], v[2:3], s[12:13]
	v_mul_f64 v[4:5], v[4:5], s[12:13]
	v_and_or_b32 v2, 0x1ff, v3, v2
	v_and_or_b32 v4, 0x1ff, v5, v4
	v_lshrrev_b32_e32 v6, 8, v3
	v_bfe_u32 v7, v3, 20, 11
	v_lshrrev_b32_e32 v8, 8, v5
	v_cmp_ne_u32_e32 vcc_lo, 0, v2
	v_bfe_u32 v9, v5, 20, 11
	v_lshrrev_b32_e32 v3, 16, v3
	v_sub_nc_u32_e32 v10, 0x3f1, v7
	v_add_nc_u32_e32 v7, 0xfffffc10, v7
	v_cndmask_b32_e64 v2, 0, 1, vcc_lo
	v_cmp_ne_u32_e32 vcc_lo, 0, v4
	v_lshrrev_b32_e32 v5, 16, v5
	v_and_or_b32 v2, 0xffe, v6, v2
	v_cndmask_b32_e64 v4, 0, 1, vcc_lo
	v_sub_nc_u32_e32 v6, 0x3f1, v9
	v_add_nc_u32_e32 v9, 0xfffffc10, v9
	v_and_or_b32 v4, 0xffe, v8, v4
	v_med3_i32 v8, v10, 0, 13
	v_or_b32_e32 v10, 0x1000, v2
	v_med3_i32 v6, v6, 0, 13
	v_or_b32_e32 v11, 0x1000, v4
	v_lshrrev_b32_e32 v12, v8, v10
	v_lshrrev_b32_e32 v13, v6, v11
	v_lshlrev_b32_e32 v8, v8, v12
	v_lshlrev_b32_e32 v6, v6, v13
	v_cmp_ne_u32_e32 vcc_lo, v8, v10
	v_lshl_or_b32 v10, v7, 12, v2
	v_cndmask_b32_e64 v8, 0, 1, vcc_lo
	v_cmp_ne_u32_e32 vcc_lo, v6, v11
	v_lshl_or_b32 v11, v9, 12, v4
	v_or_b32_e32 v8, v12, v8
	v_cndmask_b32_e64 v6, 0, 1, vcc_lo
	v_cmp_gt_i32_e32 vcc_lo, 1, v7
	v_or_b32_e32 v6, v13, v6
	v_cndmask_b32_e32 v8, v10, v8, vcc_lo
	v_cmp_gt_i32_e32 vcc_lo, 1, v9
	v_and_b32_e32 v10, 7, v8
	v_cndmask_b32_e32 v6, v11, v6, vcc_lo
	v_cmp_ne_u32_e32 vcc_lo, 0, v2
	v_lshrrev_b32_e32 v8, 2, v8
	v_cmp_eq_u32_e64 s0, 3, v10
	v_and_b32_e32 v11, 7, v6
	v_cndmask_b32_e64 v2, 0, 1, vcc_lo
	v_cmp_ne_u32_e32 vcc_lo, 0, v4
	v_lshrrev_b32_e32 v6, 2, v6
	v_cmp_lt_i32_e64 s1, 5, v11
	v_cmp_eq_u32_e64 s2, 3, v11
	v_cndmask_b32_e64 v4, 0, 1, vcc_lo
	v_cmp_lt_i32_e32 vcc_lo, 5, v10
	v_lshl_or_b32 v2, v2, 9, 0x7c00
	v_lshl_or_b32 v4, v4, 9, 0x7c00
	s_or_b32 vcc_lo, s0, vcc_lo
	v_add_co_ci_u32_e32 v8, vcc_lo, 0, v8, vcc_lo
	s_or_b32 vcc_lo, s2, s1
	v_add_co_ci_u32_e32 v6, vcc_lo, 0, v6, vcc_lo
	v_cmp_gt_i32_e32 vcc_lo, 31, v7
	v_cndmask_b32_e32 v8, 0x7c00, v8, vcc_lo
	v_cmp_gt_i32_e32 vcc_lo, 31, v9
	v_cndmask_b32_e32 v6, 0x7c00, v6, vcc_lo
	v_cmp_eq_u32_e32 vcc_lo, 0x40f, v7
	v_cndmask_b32_e32 v2, v8, v2, vcc_lo
	v_cmp_eq_u32_e32 vcc_lo, 0x40f, v9
	v_and_or_b32 v2, 0x8000, v3, v2
	v_cndmask_b32_e32 v4, v6, v4, vcc_lo
	v_add_co_u32 v0, vcc_lo, v0, s4
	v_add_co_ci_u32_e32 v1, vcc_lo, s3, v1, vcc_lo
	v_and_or_b32 v3, 0x8000, v5, v4
	v_and_b32_e32 v2, 0xffff, v2
	v_lshl_or_b32 v2, v3, 16, v2
	global_store_dword v[0:1], v2, off
.LBB0_23:
	s_endpgm
	.section	.rodata,"a",@progbits
	.p2align	6, 0x0
	.amdhsa_kernel bluestein_single_back_len663_dim1_half_op_CI_CI
		.amdhsa_group_segment_fixed_size 2652
		.amdhsa_private_segment_fixed_size 0
		.amdhsa_kernarg_size 104
		.amdhsa_user_sgpr_count 6
		.amdhsa_user_sgpr_private_segment_buffer 1
		.amdhsa_user_sgpr_dispatch_ptr 0
		.amdhsa_user_sgpr_queue_ptr 0
		.amdhsa_user_sgpr_kernarg_segment_ptr 1
		.amdhsa_user_sgpr_dispatch_id 0
		.amdhsa_user_sgpr_flat_scratch_init 0
		.amdhsa_user_sgpr_private_segment_size 0
		.amdhsa_wavefront_size32 1
		.amdhsa_uses_dynamic_stack 0
		.amdhsa_system_sgpr_private_segment_wavefront_offset 0
		.amdhsa_system_sgpr_workgroup_id_x 1
		.amdhsa_system_sgpr_workgroup_id_y 0
		.amdhsa_system_sgpr_workgroup_id_z 0
		.amdhsa_system_sgpr_workgroup_info 0
		.amdhsa_system_vgpr_workitem_id 0
		.amdhsa_next_free_vgpr 206
		.amdhsa_next_free_sgpr 16
		.amdhsa_reserve_vcc 1
		.amdhsa_reserve_flat_scratch 0
		.amdhsa_float_round_mode_32 0
		.amdhsa_float_round_mode_16_64 0
		.amdhsa_float_denorm_mode_32 3
		.amdhsa_float_denorm_mode_16_64 3
		.amdhsa_dx10_clamp 1
		.amdhsa_ieee_mode 1
		.amdhsa_fp16_overflow 0
		.amdhsa_workgroup_processor_mode 1
		.amdhsa_memory_ordered 1
		.amdhsa_forward_progress 0
		.amdhsa_shared_vgpr_count 0
		.amdhsa_exception_fp_ieee_invalid_op 0
		.amdhsa_exception_fp_denorm_src 0
		.amdhsa_exception_fp_ieee_div_zero 0
		.amdhsa_exception_fp_ieee_overflow 0
		.amdhsa_exception_fp_ieee_underflow 0
		.amdhsa_exception_fp_ieee_inexact 0
		.amdhsa_exception_int_div_zero 0
	.end_amdhsa_kernel
	.text
.Lfunc_end0:
	.size	bluestein_single_back_len663_dim1_half_op_CI_CI, .Lfunc_end0-bluestein_single_back_len663_dim1_half_op_CI_CI
                                        ; -- End function
	.section	.AMDGPU.csdata,"",@progbits
; Kernel info:
; codeLenInByte = 32240
; NumSgprs: 18
; NumVgprs: 206
; ScratchSize: 0
; MemoryBound: 0
; FloatMode: 240
; IeeeMode: 1
; LDSByteSize: 2652 bytes/workgroup (compile time only)
; SGPRBlocks: 2
; VGPRBlocks: 25
; NumSGPRsForWavesPerEU: 18
; NumVGPRsForWavesPerEU: 206
; Occupancy: 4
; WaveLimiterHint : 1
; COMPUTE_PGM_RSRC2:SCRATCH_EN: 0
; COMPUTE_PGM_RSRC2:USER_SGPR: 6
; COMPUTE_PGM_RSRC2:TRAP_HANDLER: 0
; COMPUTE_PGM_RSRC2:TGID_X_EN: 1
; COMPUTE_PGM_RSRC2:TGID_Y_EN: 0
; COMPUTE_PGM_RSRC2:TGID_Z_EN: 0
; COMPUTE_PGM_RSRC2:TIDIG_COMP_CNT: 0
	.text
	.p2alignl 6, 3214868480
	.fill 48, 4, 3214868480
	.type	__hip_cuid_275de8ecc3172838,@object ; @__hip_cuid_275de8ecc3172838
	.section	.bss,"aw",@nobits
	.globl	__hip_cuid_275de8ecc3172838
__hip_cuid_275de8ecc3172838:
	.byte	0                               ; 0x0
	.size	__hip_cuid_275de8ecc3172838, 1

	.ident	"AMD clang version 19.0.0git (https://github.com/RadeonOpenCompute/llvm-project roc-6.4.0 25133 c7fe45cf4b819c5991fe208aaa96edf142730f1d)"
	.section	".note.GNU-stack","",@progbits
	.addrsig
	.addrsig_sym __hip_cuid_275de8ecc3172838
	.amdgpu_metadata
---
amdhsa.kernels:
  - .args:
      - .actual_access:  read_only
        .address_space:  global
        .offset:         0
        .size:           8
        .value_kind:     global_buffer
      - .actual_access:  read_only
        .address_space:  global
        .offset:         8
        .size:           8
        .value_kind:     global_buffer
      - .actual_access:  read_only
        .address_space:  global
        .offset:         16
        .size:           8
        .value_kind:     global_buffer
      - .actual_access:  read_only
        .address_space:  global
        .offset:         24
        .size:           8
        .value_kind:     global_buffer
      - .actual_access:  read_only
        .address_space:  global
        .offset:         32
        .size:           8
        .value_kind:     global_buffer
      - .offset:         40
        .size:           8
        .value_kind:     by_value
      - .address_space:  global
        .offset:         48
        .size:           8
        .value_kind:     global_buffer
      - .address_space:  global
        .offset:         56
        .size:           8
        .value_kind:     global_buffer
      - .address_space:  global
        .offset:         64
        .size:           8
        .value_kind:     global_buffer
      - .address_space:  global
        .offset:         72
        .size:           8
        .value_kind:     global_buffer
      - .offset:         80
        .size:           4
        .value_kind:     by_value
      - .address_space:  global
        .offset:         88
        .size:           8
        .value_kind:     global_buffer
      - .address_space:  global
        .offset:         96
        .size:           8
        .value_kind:     global_buffer
    .group_segment_fixed_size: 2652
    .kernarg_segment_align: 8
    .kernarg_segment_size: 104
    .language:       OpenCL C
    .language_version:
      - 2
      - 0
    .max_flat_workgroup_size: 51
    .name:           bluestein_single_back_len663_dim1_half_op_CI_CI
    .private_segment_fixed_size: 0
    .sgpr_count:     18
    .sgpr_spill_count: 0
    .symbol:         bluestein_single_back_len663_dim1_half_op_CI_CI.kd
    .uniform_work_group_size: 1
    .uses_dynamic_stack: false
    .vgpr_count:     206
    .vgpr_spill_count: 0
    .wavefront_size: 32
    .workgroup_processor_mode: 1
amdhsa.target:   amdgcn-amd-amdhsa--gfx1030
amdhsa.version:
  - 1
  - 2
...

	.end_amdgpu_metadata
